;; amdgpu-corpus repo=ROCm/rocSPARSE kind=compiled arch=gfx1100 opt=O3
	.text
	.amdgcn_target "amdgcn-amd-amdhsa--gfx1100"
	.amdhsa_code_object_version 6
	.section	.text._ZN9rocsparseL18bsrxmvn_5x5_kernelILj50EfiifffEEvT2_20rocsparse_direction_NS_24const_host_device_scalarIT0_EES1_PKS1_PKT1_SA_S7_PKT3_PKT4_S5_PT5_21rocsparse_index_base_b,"axG",@progbits,_ZN9rocsparseL18bsrxmvn_5x5_kernelILj50EfiifffEEvT2_20rocsparse_direction_NS_24const_host_device_scalarIT0_EES1_PKS1_PKT1_SA_S7_PKT3_PKT4_S5_PT5_21rocsparse_index_base_b,comdat
	.globl	_ZN9rocsparseL18bsrxmvn_5x5_kernelILj50EfiifffEEvT2_20rocsparse_direction_NS_24const_host_device_scalarIT0_EES1_PKS1_PKT1_SA_S7_PKT3_PKT4_S5_PT5_21rocsparse_index_base_b ; -- Begin function _ZN9rocsparseL18bsrxmvn_5x5_kernelILj50EfiifffEEvT2_20rocsparse_direction_NS_24const_host_device_scalarIT0_EES1_PKS1_PKT1_SA_S7_PKT3_PKT4_S5_PT5_21rocsparse_index_base_b
	.p2align	8
	.type	_ZN9rocsparseL18bsrxmvn_5x5_kernelILj50EfiifffEEvT2_20rocsparse_direction_NS_24const_host_device_scalarIT0_EES1_PKS1_PKT1_SA_S7_PKT3_PKT4_S5_PT5_21rocsparse_index_base_b,@function
_ZN9rocsparseL18bsrxmvn_5x5_kernelILj50EfiifffEEvT2_20rocsparse_direction_NS_24const_host_device_scalarIT0_EES1_PKS1_PKT1_SA_S7_PKT3_PKT4_S5_PT5_21rocsparse_index_base_b: ; @_ZN9rocsparseL18bsrxmvn_5x5_kernelILj50EfiifffEEvT2_20rocsparse_direction_NS_24const_host_device_scalarIT0_EES1_PKS1_PKT1_SA_S7_PKT3_PKT4_S5_PT5_21rocsparse_index_base_b
; %bb.0:
	s_mov_b32 s8, s15
	s_clause 0x2
	s_load_b64 s[14:15], s[0:1], 0x58
	s_load_b64 s[10:11], s[0:1], 0x8
	;; [unrolled: 1-line block ×3, first 2 shown]
	s_waitcnt lgkmcnt(0)
	s_bitcmp1_b32 s15, 0
	s_cselect_b32 s4, -1, 0
	s_delay_alu instid0(SALU_CYCLE_1)
	s_and_b32 vcc_lo, exec_lo, s4
	s_xor_b32 s4, s4, -1
	s_cbranch_vccnz .LBB0_2
; %bb.1:
	s_load_b32 s10, s[10:11], 0x0
.LBB0_2:
	s_and_not1_b32 vcc_lo, exec_lo, s4
	s_cbranch_vccnz .LBB0_4
; %bb.3:
	s_load_b32 s2, s[2:3], 0x0
.LBB0_4:
	s_waitcnt lgkmcnt(0)
	v_cmp_neq_f32_e64 s3, s10, 0
	v_cmp_neq_f32_e64 s4, s2, 1.0
	s_delay_alu instid0(VALU_DEP_1) | instskip(NEXT) | instid1(SALU_CYCLE_1)
	s_or_b32 s3, s3, s4
	s_and_not1_b32 vcc_lo, exec_lo, s3
	s_cbranch_vccnz .LBB0_38
; %bb.5:
	s_clause 0x1
	s_load_b128 s[4:7], s[0:1], 0x18
	s_load_b64 s[12:13], s[0:1], 0x28
	s_waitcnt lgkmcnt(0)
	s_cmp_eq_u64 s[4:5], 0
	s_cbranch_scc1 .LBB0_7
; %bb.6:
	s_ashr_i32 s9, s8, 31
	s_delay_alu instid0(SALU_CYCLE_1) | instskip(NEXT) | instid1(SALU_CYCLE_1)
	s_lshl_b64 s[8:9], s[8:9], 2
	s_add_u32 s4, s4, s8
	s_addc_u32 s5, s5, s9
	s_load_b32 s3, s[4:5], 0x0
	s_waitcnt lgkmcnt(0)
	s_sub_i32 s8, s3, s14
.LBB0_7:
	s_load_b32 s3, s[0:1], 0x4
	v_mul_u32_u24_e32 v1, 0x3334, v0
	v_mov_b32_e32 v6, 0
	s_delay_alu instid0(VALU_DEP_2) | instskip(NEXT) | instid1(VALU_DEP_1)
	v_lshrrev_b32_e32 v1, 16, v1
	v_mul_lo_u16 v2, v1, 5
	s_delay_alu instid0(VALU_DEP_1)
	v_sub_nc_u16 v7, v0, v2
	s_waitcnt lgkmcnt(0)
	s_cmp_eq_u32 s3, 1
	s_cselect_b32 vcc_lo, -1, 0
	s_cmp_lg_u32 s3, 1
	s_cselect_b32 s3, -1, 0
	s_ashr_i32 s9, s8, 31
	s_delay_alu instid0(SALU_CYCLE_1) | instskip(NEXT) | instid1(SALU_CYCLE_1)
	s_lshl_b64 s[4:5], s[8:9], 2
	s_add_u32 s6, s6, s4
	s_addc_u32 s7, s7, s5
	s_add_u32 s9, s6, 4
	s_addc_u32 s11, s7, 0
	;; [unrolled: 2-line block ×3, first 2 shown]
	s_cmp_eq_u64 s[12:13], 0
	s_load_b64 s[12:13], s[0:1], 0x50
	s_cselect_b32 s5, s11, s5
	s_cselect_b32 s4, s9, s4
	s_load_b32 s11, s[6:7], 0x0
	s_load_b32 s9, s[4:5], 0x0
	s_waitcnt lgkmcnt(0)
	s_cmp_ge_i32 s11, s9
	s_cbranch_scc1 .LBB0_12
; %bb.8:
	v_mul_lo_u16 v2, v1, 52
	s_clause 0x1
	s_load_b128 s[4:7], s[0:1], 0x30
	s_load_b64 s[0:1], s[0:1], 0x40
	v_and_b32_e32 v5, 0xffff, v0
	v_mad_u64_u32 v[3:4], null, s11, 25, v[0:1]
	v_lshrrev_b16 v2, 8, v2
	v_and_b32_e32 v4, 0xffff, v7
	s_mul_i32 s15, s14, 25
	s_sub_i32 s9, s9, s14
	s_sub_i32 s11, s11, s14
	v_mul_lo_u16 v2, v2, 5
	s_delay_alu instid0(VALU_DEP_1) | instskip(SKIP_2) | instid1(VALU_DEP_3)
	v_sub_nc_u16 v1, v1, v2
	v_mov_b32_e32 v2, 0
	v_mul_u32_u24_e32 v5, 0xa3e, v5
	v_and_b32_e32 v6, 0xff, v1
	v_subrev_nc_u32_e32 v1, s15, v3
	s_delay_alu instid0(VALU_DEP_3) | instskip(NEXT) | instid1(VALU_DEP_3)
	v_lshrrev_b32_e32 v8, 16, v5
	v_dual_cndmask_b32 v3, v4, v6 :: v_dual_mov_b32 v6, v2
	s_set_inst_prefetch_distance 0x1
	s_branch .LBB0_10
	.p2align	6
.LBB0_9:                                ;   in Loop: Header=BB0_10 Depth=1
	s_or_b32 exec_lo, exec_lo, s15
	v_add_nc_u32_e32 v1, 50, v1
	s_add_i32 s11, s11, 2
	s_delay_alu instid0(SALU_CYCLE_1)
	s_cmp_ge_i32 s11, s9
	s_cbranch_scc1 .LBB0_12
.LBB0_10:                               ; =>This Inner Loop Header: Depth=1
	s_delay_alu instid0(VALU_DEP_2) | instskip(SKIP_1) | instid1(VALU_DEP_1)
	v_add_nc_u32_e32 v4, s11, v8
	s_mov_b32 s15, exec_lo
	v_cmpx_gt_i32_e64 s9, v4
	s_cbranch_execz .LBB0_9
; %bb.11:                               ;   in Loop: Header=BB0_10 Depth=1
	v_ashrrev_i32_e32 v5, 31, v4
	s_delay_alu instid0(VALU_DEP_1) | instskip(SKIP_1) | instid1(VALU_DEP_1)
	v_lshlrev_b64 v[4:5], 2, v[4:5]
	s_waitcnt lgkmcnt(0)
	v_add_co_u32 v4, vcc_lo, s4, v4
	s_delay_alu instid0(VALU_DEP_2) | instskip(SKIP_3) | instid1(VALU_DEP_1)
	v_add_co_ci_u32_e32 v5, vcc_lo, s5, v5, vcc_lo
	global_load_b32 v4, v[4:5], off
	s_waitcnt vmcnt(0)
	v_subrev_nc_u32_e32 v9, s14, v4
	v_mad_u64_u32 v[4:5], null, v9, 5, v[3:4]
	v_lshlrev_b64 v[9:10], 2, v[1:2]
	s_delay_alu instid0(VALU_DEP_1) | instskip(NEXT) | instid1(VALU_DEP_3)
	v_add_co_u32 v9, vcc_lo, s6, v9
	v_ashrrev_i32_e32 v5, 31, v4
	s_delay_alu instid0(VALU_DEP_3) | instskip(NEXT) | instid1(VALU_DEP_2)
	v_add_co_ci_u32_e32 v10, vcc_lo, s7, v10, vcc_lo
	v_lshlrev_b64 v[4:5], 2, v[4:5]
	s_delay_alu instid0(VALU_DEP_1) | instskip(NEXT) | instid1(VALU_DEP_2)
	v_add_co_u32 v4, vcc_lo, s0, v4
	v_add_co_ci_u32_e32 v5, vcc_lo, s1, v5, vcc_lo
	global_load_b32 v9, v[9:10], off
	global_load_b32 v4, v[4:5], off
	s_waitcnt vmcnt(0)
	v_fmac_f32_e32 v6, v9, v4
	s_branch .LBB0_9
.LBB0_12:
	s_set_inst_prefetch_distance 0x2
	v_lshlrev_b32_e32 v1, 2, v0
	s_and_b32 vcc_lo, exec_lo, s3
	ds_store_b32 v1, v6
	s_waitcnt lgkmcnt(0)
	buffer_gl0_inv
	s_cbranch_vccz .LBB0_22
; %bb.13:
	s_mov_b32 s0, exec_lo
	v_cmpx_gt_u32_e32 25, v0
	s_cbranch_execz .LBB0_15
; %bb.14:
	ds_load_2addr_b32 v[2:3], v1 offset1:25
	s_waitcnt lgkmcnt(0)
	v_add_f32_e32 v2, v3, v2
	ds_store_b32 v1, v2
.LBB0_15:
	s_or_b32 exec_lo, exec_lo, s0
	s_delay_alu instid0(SALU_CYCLE_1)
	s_mov_b32 s0, exec_lo
	s_waitcnt lgkmcnt(0)
	buffer_gl0_inv
	v_cmpx_eq_u16_e32 0, v7
	s_cbranch_execz .LBB0_17
; %bb.16:
	ds_load_2addr_b32 v[2:3], v1 offset1:4
	s_waitcnt lgkmcnt(0)
	v_add_f32_e32 v2, v3, v2
	ds_store_b32 v1, v2
.LBB0_17:
	s_or_b32 exec_lo, exec_lo, s0
	s_delay_alu instid0(SALU_CYCLE_1)
	s_mov_b32 s0, exec_lo
	s_waitcnt lgkmcnt(0)
	buffer_gl0_inv
	v_cmpx_gt_u16_e32 2, v7
	s_cbranch_execz .LBB0_19
; %bb.18:
	ds_load_2addr_b32 v[2:3], v1 offset1:2
	s_waitcnt lgkmcnt(0)
	v_add_f32_e32 v2, v3, v2
	ds_store_b32 v1, v2
.LBB0_19:
	s_or_b32 exec_lo, exec_lo, s0
	s_mov_b32 s0, 0
	s_mov_b32 s1, 0
	s_mov_b32 s3, exec_lo
	s_waitcnt lgkmcnt(0)
	buffer_gl0_inv
                                        ; implicit-def: $vgpr2
                                        ; implicit-def: $vgpr3
	v_cmpx_gt_u32_e32 5, v0
	s_xor_b32 s3, exec_lo, s3
; %bb.20:
	v_mad_u32_u24 v2, v0, 5, 1
	v_lshl_add_u32 v3, v0, 4, v1
	s_mov_b32 s1, exec_lo
; %bb.21:
	s_or_b32 exec_lo, exec_lo, s3
	s_delay_alu instid0(SALU_CYCLE_1)
	s_and_b32 vcc_lo, exec_lo, s0
	s_cbranch_vccnz .LBB0_23
	s_branch .LBB0_32
.LBB0_22:
	s_mov_b32 s1, 0
                                        ; implicit-def: $vgpr2
                                        ; implicit-def: $vgpr3
	s_cbranch_execz .LBB0_32
.LBB0_23:
	v_cmp_gt_u32_e32 vcc_lo, 10, v0
	s_and_saveexec_b32 s0, vcc_lo
	s_cbranch_execz .LBB0_25
; %bb.24:
	ds_load_2addr_b32 v[2:3], v1 offset1:40
	s_waitcnt lgkmcnt(0)
	v_add_f32_e32 v2, v3, v2
	ds_store_b32 v1, v2
.LBB0_25:
	s_or_b32 exec_lo, exec_lo, s0
	s_delay_alu instid0(SALU_CYCLE_1)
	s_mov_b32 s3, exec_lo
	s_waitcnt lgkmcnt(0)
	buffer_gl0_inv
	v_cmpx_gt_u32_e32 20, v0
	s_cbranch_execz .LBB0_27
; %bb.26:
	ds_load_2addr_b32 v[2:3], v1 offset1:20
	s_waitcnt lgkmcnt(0)
	v_add_f32_e32 v2, v3, v2
	ds_store_b32 v1, v2
.LBB0_27:
	s_or_b32 exec_lo, exec_lo, s3
	s_waitcnt lgkmcnt(0)
	buffer_gl0_inv
	s_and_saveexec_b32 s0, vcc_lo
	s_cbranch_execz .LBB0_29
; %bb.28:
	ds_load_2addr_b32 v[2:3], v1 offset1:10
	s_waitcnt lgkmcnt(0)
	v_add_f32_e32 v2, v3, v2
	ds_store_b32 v1, v2
.LBB0_29:
	s_or_b32 exec_lo, exec_lo, s0
	s_delay_alu instid0(SALU_CYCLE_1)
	s_mov_b32 s0, exec_lo
	s_waitcnt lgkmcnt(0)
	buffer_gl0_inv
                                        ; implicit-def: $vgpr2
	v_cmpx_gt_u32_e32 5, v0
; %bb.30:
	v_add_nc_u32_e32 v2, 5, v0
	s_or_b32 s1, s1, exec_lo
                                        ; implicit-def: $vgpr6
; %bb.31:
	s_or_b32 exec_lo, exec_lo, s0
	v_mov_b32_e32 v3, v1
.LBB0_32:
	s_and_saveexec_b32 s0, s1
	s_cbranch_execz .LBB0_34
; %bb.33:
	v_lshlrev_b32_e32 v1, 2, v2
	ds_load_b32 v2, v3
	ds_load_b32 v1, v1
	s_waitcnt lgkmcnt(0)
	v_add_f32_e32 v6, v2, v1
.LBB0_34:
	s_or_b32 exec_lo, exec_lo, s0
	s_delay_alu instid0(SALU_CYCLE_1)
	s_mov_b32 s0, exec_lo
	v_cmpx_gt_u32_e32 5, v0
	s_cbranch_execz .LBB0_38
; %bb.35:
	v_cmp_eq_f32_e64 s0, s2, 0
	v_mul_f32_e32 v1, s10, v6
	s_delay_alu instid0(VALU_DEP_2)
	s_and_b32 vcc_lo, exec_lo, s0
	s_mov_b32 s0, 0
	s_cbranch_vccz .LBB0_39
; %bb.36:
	s_delay_alu instid0(VALU_DEP_1) | instskip(SKIP_1) | instid1(VALU_DEP_1)
	v_mad_u64_u32 v[2:3], null, s8, 5, v[0:1]
	v_mov_b32_e32 v3, 0
	v_lshlrev_b64 v[2:3], 2, v[2:3]
	s_delay_alu instid0(VALU_DEP_1) | instskip(NEXT) | instid1(VALU_DEP_2)
	v_add_co_u32 v2, vcc_lo, s12, v2
	v_add_co_ci_u32_e32 v3, vcc_lo, s13, v3, vcc_lo
	global_store_b32 v[2:3], v1, off
	s_and_not1_b32 vcc_lo, exec_lo, s0
	s_cbranch_vccnz .LBB0_38
.LBB0_37:
	v_mad_u64_u32 v[2:3], null, s8, 5, v[0:1]
	v_mov_b32_e32 v3, 0
	s_delay_alu instid0(VALU_DEP_1) | instskip(NEXT) | instid1(VALU_DEP_1)
	v_lshlrev_b64 v[2:3], 2, v[2:3]
	v_add_co_u32 v2, vcc_lo, s12, v2
	s_delay_alu instid0(VALU_DEP_2)
	v_add_co_ci_u32_e32 v3, vcc_lo, s13, v3, vcc_lo
	global_load_b32 v0, v[2:3], off
	s_waitcnt vmcnt(0)
	v_fmac_f32_e32 v1, s2, v0
	global_store_b32 v[2:3], v1, off
.LBB0_38:
	s_nop 0
	s_sendmsg sendmsg(MSG_DEALLOC_VGPRS)
	s_endpgm
.LBB0_39:
	s_branch .LBB0_37
	.section	.rodata,"a",@progbits
	.p2align	6, 0x0
	.amdhsa_kernel _ZN9rocsparseL18bsrxmvn_5x5_kernelILj50EfiifffEEvT2_20rocsparse_direction_NS_24const_host_device_scalarIT0_EES1_PKS1_PKT1_SA_S7_PKT3_PKT4_S5_PT5_21rocsparse_index_base_b
		.amdhsa_group_segment_fixed_size 200
		.amdhsa_private_segment_fixed_size 0
		.amdhsa_kernarg_size 96
		.amdhsa_user_sgpr_count 15
		.amdhsa_user_sgpr_dispatch_ptr 0
		.amdhsa_user_sgpr_queue_ptr 0
		.amdhsa_user_sgpr_kernarg_segment_ptr 1
		.amdhsa_user_sgpr_dispatch_id 0
		.amdhsa_user_sgpr_private_segment_size 0
		.amdhsa_wavefront_size32 1
		.amdhsa_uses_dynamic_stack 0
		.amdhsa_enable_private_segment 0
		.amdhsa_system_sgpr_workgroup_id_x 1
		.amdhsa_system_sgpr_workgroup_id_y 0
		.amdhsa_system_sgpr_workgroup_id_z 0
		.amdhsa_system_sgpr_workgroup_info 0
		.amdhsa_system_vgpr_workitem_id 0
		.amdhsa_next_free_vgpr 11
		.amdhsa_next_free_sgpr 16
		.amdhsa_reserve_vcc 1
		.amdhsa_float_round_mode_32 0
		.amdhsa_float_round_mode_16_64 0
		.amdhsa_float_denorm_mode_32 3
		.amdhsa_float_denorm_mode_16_64 3
		.amdhsa_dx10_clamp 1
		.amdhsa_ieee_mode 1
		.amdhsa_fp16_overflow 0
		.amdhsa_workgroup_processor_mode 1
		.amdhsa_memory_ordered 1
		.amdhsa_forward_progress 0
		.amdhsa_shared_vgpr_count 0
		.amdhsa_exception_fp_ieee_invalid_op 0
		.amdhsa_exception_fp_denorm_src 0
		.amdhsa_exception_fp_ieee_div_zero 0
		.amdhsa_exception_fp_ieee_overflow 0
		.amdhsa_exception_fp_ieee_underflow 0
		.amdhsa_exception_fp_ieee_inexact 0
		.amdhsa_exception_int_div_zero 0
	.end_amdhsa_kernel
	.section	.text._ZN9rocsparseL18bsrxmvn_5x5_kernelILj50EfiifffEEvT2_20rocsparse_direction_NS_24const_host_device_scalarIT0_EES1_PKS1_PKT1_SA_S7_PKT3_PKT4_S5_PT5_21rocsparse_index_base_b,"axG",@progbits,_ZN9rocsparseL18bsrxmvn_5x5_kernelILj50EfiifffEEvT2_20rocsparse_direction_NS_24const_host_device_scalarIT0_EES1_PKS1_PKT1_SA_S7_PKT3_PKT4_S5_PT5_21rocsparse_index_base_b,comdat
.Lfunc_end0:
	.size	_ZN9rocsparseL18bsrxmvn_5x5_kernelILj50EfiifffEEvT2_20rocsparse_direction_NS_24const_host_device_scalarIT0_EES1_PKS1_PKT1_SA_S7_PKT3_PKT4_S5_PT5_21rocsparse_index_base_b, .Lfunc_end0-_ZN9rocsparseL18bsrxmvn_5x5_kernelILj50EfiifffEEvT2_20rocsparse_direction_NS_24const_host_device_scalarIT0_EES1_PKS1_PKT1_SA_S7_PKT3_PKT4_S5_PT5_21rocsparse_index_base_b
                                        ; -- End function
	.section	.AMDGPU.csdata,"",@progbits
; Kernel info:
; codeLenInByte = 1344
; NumSgprs: 18
; NumVgprs: 11
; ScratchSize: 0
; MemoryBound: 0
; FloatMode: 240
; IeeeMode: 1
; LDSByteSize: 200 bytes/workgroup (compile time only)
; SGPRBlocks: 2
; VGPRBlocks: 1
; NumSGPRsForWavesPerEU: 18
; NumVGPRsForWavesPerEU: 11
; Occupancy: 16
; WaveLimiterHint : 1
; COMPUTE_PGM_RSRC2:SCRATCH_EN: 0
; COMPUTE_PGM_RSRC2:USER_SGPR: 15
; COMPUTE_PGM_RSRC2:TRAP_HANDLER: 0
; COMPUTE_PGM_RSRC2:TGID_X_EN: 1
; COMPUTE_PGM_RSRC2:TGID_Y_EN: 0
; COMPUTE_PGM_RSRC2:TGID_Z_EN: 0
; COMPUTE_PGM_RSRC2:TIDIG_COMP_CNT: 0
	.section	.text._ZN9rocsparseL19sbsrxmvn_5x5_kernelILj256EL20rocsparse_direction_0EiiEEvT2_NS_24const_host_device_scalarIfEES2_PKS2_PKT1_S9_S6_PKfSB_S4_Pf21rocsparse_index_base_b,"axG",@progbits,_ZN9rocsparseL19sbsrxmvn_5x5_kernelILj256EL20rocsparse_direction_0EiiEEvT2_NS_24const_host_device_scalarIfEES2_PKS2_PKT1_S9_S6_PKfSB_S4_Pf21rocsparse_index_base_b,comdat
	.globl	_ZN9rocsparseL19sbsrxmvn_5x5_kernelILj256EL20rocsparse_direction_0EiiEEvT2_NS_24const_host_device_scalarIfEES2_PKS2_PKT1_S9_S6_PKfSB_S4_Pf21rocsparse_index_base_b ; -- Begin function _ZN9rocsparseL19sbsrxmvn_5x5_kernelILj256EL20rocsparse_direction_0EiiEEvT2_NS_24const_host_device_scalarIfEES2_PKS2_PKT1_S9_S6_PKfSB_S4_Pf21rocsparse_index_base_b
	.p2align	8
	.type	_ZN9rocsparseL19sbsrxmvn_5x5_kernelILj256EL20rocsparse_direction_0EiiEEvT2_NS_24const_host_device_scalarIfEES2_PKS2_PKT1_S9_S6_PKfSB_S4_Pf21rocsparse_index_base_b,@function
_ZN9rocsparseL19sbsrxmvn_5x5_kernelILj256EL20rocsparse_direction_0EiiEEvT2_NS_24const_host_device_scalarIfEES2_PKS2_PKT1_S9_S6_PKfSB_S4_Pf21rocsparse_index_base_b: ; @_ZN9rocsparseL19sbsrxmvn_5x5_kernelILj256EL20rocsparse_direction_0EiiEEvT2_NS_24const_host_device_scalarIfEES2_PKS2_PKT1_S9_S6_PKfSB_S4_Pf21rocsparse_index_base_b
; %bb.0:
	s_clause 0x2
	s_load_b64 s[12:13], s[0:1], 0x58
	s_load_b64 s[8:9], s[0:1], 0x8
	;; [unrolled: 1-line block ×3, first 2 shown]
	s_waitcnt lgkmcnt(0)
	s_bitcmp1_b32 s13, 0
	s_cselect_b32 s2, -1, 0
	s_delay_alu instid0(SALU_CYCLE_1)
	s_and_b32 vcc_lo, exec_lo, s2
	s_xor_b32 s2, s2, -1
	s_cbranch_vccnz .LBB1_2
; %bb.1:
	s_load_b32 s8, s[8:9], 0x0
.LBB1_2:
	s_and_not1_b32 vcc_lo, exec_lo, s2
	s_cbranch_vccnz .LBB1_4
; %bb.3:
	s_load_b32 s10, s[10:11], 0x0
.LBB1_4:
	s_waitcnt lgkmcnt(0)
	v_cmp_neq_f32_e64 s2, s8, 0
	v_cmp_neq_f32_e64 s3, s10, 1.0
	s_delay_alu instid0(VALU_DEP_1) | instskip(NEXT) | instid1(SALU_CYCLE_1)
	s_or_b32 s2, s2, s3
	s_and_not1_b32 vcc_lo, exec_lo, s2
	s_cbranch_vccnz .LBB1_20
; %bb.5:
	s_clause 0x1
	s_load_b32 s4, s[0:1], 0x6c
	s_load_b64 s[2:3], s[0:1], 0x18
	v_bfe_u32 v3, v0, 10, 10
	s_waitcnt lgkmcnt(0)
	s_lshr_b32 s4, s4, 16
	s_cmp_eq_u64 s[2:3], 0
	s_delay_alu instid0(VALU_DEP_1)
	v_mad_u64_u32 v[1:2], null, s15, s4, v[3:4]
	s_cbranch_scc1 .LBB1_7
; %bb.6:
	s_delay_alu instid0(VALU_DEP_1) | instskip(NEXT) | instid1(VALU_DEP_1)
	v_ashrrev_i32_e32 v2, 31, v1
	v_lshlrev_b64 v[1:2], 2, v[1:2]
	s_delay_alu instid0(VALU_DEP_1) | instskip(NEXT) | instid1(VALU_DEP_2)
	v_add_co_u32 v1, vcc_lo, s2, v1
	v_add_co_ci_u32_e32 v2, vcc_lo, s3, v2, vcc_lo
	global_load_b32 v1, v[1:2], off
	s_waitcnt vmcnt(0)
	v_subrev_nc_u32_e32 v1, s12, v1
.LBB1_7:
	s_load_b32 s2, s[0:1], 0x0
	v_and_b32_e32 v9, 0x3ff, v0
	s_waitcnt lgkmcnt(0)
	s_delay_alu instid0(VALU_DEP_2) | instskip(NEXT) | instid1(VALU_DEP_2)
	v_cmp_gt_i32_e32 vcc_lo, s2, v1
	v_cmp_gt_u32_e64 s2, 25, v9
	s_delay_alu instid0(VALU_DEP_1) | instskip(NEXT) | instid1(SALU_CYCLE_1)
	s_and_b32 s2, s2, vcc_lo
	s_and_saveexec_b32 s3, s2
	s_cbranch_execz .LBB1_20
; %bb.8:
	s_clause 0x1
	s_load_b128 s[4:7], s[0:1], 0x20
	s_load_b64 s[2:3], s[0:1], 0x50
	v_ashrrev_i32_e32 v2, 31, v1
	v_mov_b32_e32 v10, 0
	s_mov_b32 s9, exec_lo
	s_delay_alu instid0(VALU_DEP_2) | instskip(SKIP_1) | instid1(VALU_DEP_1)
	v_lshlrev_b64 v[2:3], 2, v[1:2]
	s_waitcnt lgkmcnt(0)
	v_add_co_u32 v4, vcc_lo, s4, v2
	s_delay_alu instid0(VALU_DEP_2) | instskip(SKIP_2) | instid1(VALU_DEP_4)
	v_add_co_ci_u32_e32 v5, vcc_lo, s5, v3, vcc_lo
	v_add_co_u32 v0, vcc_lo, s6, v2
	v_add_co_ci_u32_e32 v2, vcc_lo, s7, v3, vcc_lo
	v_add_co_u32 v6, vcc_lo, v4, 4
	s_delay_alu instid0(VALU_DEP_4) | instskip(SKIP_2) | instid1(VALU_DEP_1)
	v_add_co_ci_u32_e32 v3, vcc_lo, 0, v5, vcc_lo
	s_cmp_eq_u64 s[6:7], 0
	s_cselect_b32 vcc_lo, -1, 0
	v_dual_cndmask_b32 v3, v2, v3 :: v_dual_cndmask_b32 v2, v0, v6
	global_load_b32 v12, v[4:5], off
	global_load_b32 v4, v[2:3], off
	v_mul_u32_u24_e32 v0, 0x3334, v9
	s_delay_alu instid0(VALU_DEP_1) | instskip(NEXT) | instid1(VALU_DEP_1)
	v_lshrrev_b32_e32 v3, 16, v0
	v_mul_lo_u16 v0, v3, 5
	s_delay_alu instid0(VALU_DEP_1) | instskip(NEXT) | instid1(VALU_DEP_1)
	v_sub_nc_u16 v0, v9, v0
	v_and_b32_e32 v0, 0xffff, v0
	s_waitcnt vmcnt(0)
	v_cmpx_lt_i32_e64 v12, v4
	s_cbranch_execz .LBB1_18
; %bb.9:
	v_subrev_nc_u32_e32 v2, s12, v12
	s_clause 0x1
	s_load_b128 s[4:7], s[0:1], 0x30
	s_load_b64 s[14:15], s[0:1], 0x40
	v_subrev_nc_u32_e32 v11, s12, v4
	s_mov_b32 s1, exec_lo
	v_add_nc_u32_e32 v4, 1, v2
	v_mov_b32_e32 v10, 0
	s_delay_alu instid0(VALU_DEP_2) | instskip(SKIP_2) | instid1(VALU_DEP_3)
	v_max_i32_e32 v5, v4, v11
	v_and_b32_e32 v4, 0xffff, v3
	v_mul_u32_u24_e32 v3, 5, v0
	v_add_nc_u32_e32 v13, s12, v5
	s_delay_alu instid0(VALU_DEP_2) | instskip(NEXT) | instid1(VALU_DEP_2)
	v_add_lshl_u32 v3, v3, v4, 2
	v_sub_nc_u32_e32 v5, v13, v12
	s_waitcnt lgkmcnt(0)
	s_delay_alu instid0(VALU_DEP_2) | instskip(NEXT) | instid1(VALU_DEP_1)
	v_add_co_u32 v14, s0, s6, v3
	v_add_co_ci_u32_e64 v15, null, s7, 0, s0
	s_delay_alu instid0(VALU_DEP_3) | instskip(SKIP_1) | instid1(VALU_DEP_2)
	v_and_b32_e32 v7, 3, v5
	s_mov_b32 s6, 0
	v_mad_i64_i32 v[5:6], null, 0x64, v2, v[14:15]
	s_delay_alu instid0(VALU_DEP_2)
	v_cmpx_ne_u32_e32 0, v7
	s_cbranch_execz .LBB1_13
; %bb.10:
	v_ashrrev_i32_e32 v3, 31, v2
	v_mov_b32_e32 v10, 0
	s_delay_alu instid0(VALU_DEP_2) | instskip(SKIP_1) | instid1(VALU_DEP_2)
	v_lshlrev_b64 v[14:15], 2, v[2:3]
	v_mul_u32_u24_e32 v3, 0x64, v7
	v_add_co_u32 v7, vcc_lo, s4, v14
	s_delay_alu instid0(VALU_DEP_3)
	v_add_co_ci_u32_e32 v8, vcc_lo, s5, v15, vcc_lo
	.p2align	6
.LBB1_11:                               ; =>This Inner Loop Header: Depth=1
	global_load_b32 v14, v[7:8], off
	v_add_nc_u32_e32 v2, 1, v2
	s_waitcnt vmcnt(0)
	v_subrev_nc_u32_e32 v16, s12, v14
	s_delay_alu instid0(VALU_DEP_1) | instskip(NEXT) | instid1(VALU_DEP_1)
	v_mad_u64_u32 v[14:15], null, v16, 5, v[4:5]
	v_ashrrev_i32_e32 v15, 31, v14
	s_delay_alu instid0(VALU_DEP_1) | instskip(NEXT) | instid1(VALU_DEP_1)
	v_lshlrev_b64 v[14:15], 2, v[14:15]
	v_add_co_u32 v14, vcc_lo, s14, v14
	s_delay_alu instid0(VALU_DEP_2)
	v_add_co_ci_u32_e32 v15, vcc_lo, s15, v15, vcc_lo
	global_load_b32 v16, v[5:6], off
	global_load_b32 v14, v[14:15], off
	v_add_nc_u32_e32 v3, 0xffffff9c, v3
	v_add_co_u32 v5, vcc_lo, 0x64, v5
	v_add_co_ci_u32_e32 v6, vcc_lo, 0, v6, vcc_lo
	v_add_co_u32 v7, vcc_lo, v7, 4
	v_add_co_ci_u32_e32 v8, vcc_lo, 0, v8, vcc_lo
	s_waitcnt vmcnt(0)
	v_fmac_f32_e32 v10, v16, v14
	v_cmp_eq_u32_e64 s0, 0, v3
	s_delay_alu instid0(VALU_DEP_1) | instskip(NEXT) | instid1(SALU_CYCLE_1)
	s_or_b32 s6, s0, s6
	s_and_not1_b32 exec_lo, exec_lo, s6
	s_cbranch_execnz .LBB1_11
; %bb.12:
	s_or_b32 exec_lo, exec_lo, s6
.LBB1_13:
	s_delay_alu instid0(SALU_CYCLE_1) | instskip(SKIP_2) | instid1(VALU_DEP_1)
	s_or_b32 exec_lo, exec_lo, s1
	v_sub_nc_u32_e32 v3, v12, v13
	s_mov_b32 s1, exec_lo
	v_cmpx_gt_u32_e32 -3, v3
	s_cbranch_execz .LBB1_17
; %bb.14:
	v_ashrrev_i32_e32 v3, 31, v2
	s_delay_alu instid0(VALU_DEP_1) | instskip(NEXT) | instid1(VALU_DEP_1)
	v_lshlrev_b64 v[7:8], 2, v[2:3]
	v_add_co_u32 v3, vcc_lo, v7, s4
	s_delay_alu instid0(VALU_DEP_2) | instskip(SKIP_1) | instid1(VALU_DEP_2)
	v_add_co_ci_u32_e32 v8, vcc_lo, s5, v8, vcc_lo
	s_mov_b32 s4, 0
	v_add_co_u32 v7, vcc_lo, v3, 8
	s_delay_alu instid0(VALU_DEP_2)
	v_add_co_ci_u32_e32 v8, vcc_lo, 0, v8, vcc_lo
.LBB1_15:                               ; =>This Inner Loop Header: Depth=1
	global_load_b128 v[12:15], v[7:8], off offset:-8
	s_clause 0x2
	global_load_b32 v3, v[5:6], off
	global_load_b32 v20, v[5:6], off offset:100
	global_load_b32 v21, v[5:6], off offset:200
	v_add_nc_u32_e32 v2, 4, v2
	s_delay_alu instid0(VALU_DEP_1) | instskip(NEXT) | instid1(VALU_DEP_1)
	v_cmp_ge_i32_e64 s0, v2, v11
	s_or_b32 s4, s0, s4
	s_waitcnt vmcnt(3)
	v_subrev_nc_u32_e32 v16, s12, v12
	v_subrev_nc_u32_e32 v17, s12, v13
	;; [unrolled: 1-line block ×4, first 2 shown]
	s_delay_alu instid0(VALU_DEP_4) | instskip(NEXT) | instid1(VALU_DEP_4)
	v_mad_u64_u32 v[12:13], null, v16, 5, v[4:5]
	v_mad_u64_u32 v[14:15], null, v17, 5, v[4:5]
	s_delay_alu instid0(VALU_DEP_4) | instskip(NEXT) | instid1(VALU_DEP_4)
	v_mad_u64_u32 v[16:17], null, v18, 5, v[4:5]
	v_mad_u64_u32 v[18:19], null, v22, 5, v[4:5]
	s_delay_alu instid0(VALU_DEP_4) | instskip(NEXT) | instid1(VALU_DEP_4)
	v_ashrrev_i32_e32 v13, 31, v12
	v_ashrrev_i32_e32 v15, 31, v14
	s_delay_alu instid0(VALU_DEP_4) | instskip(NEXT) | instid1(VALU_DEP_3)
	v_ashrrev_i32_e32 v17, 31, v16
	v_lshlrev_b64 v[12:13], 2, v[12:13]
	v_ashrrev_i32_e32 v19, 31, v18
	s_delay_alu instid0(VALU_DEP_4) | instskip(NEXT) | instid1(VALU_DEP_4)
	v_lshlrev_b64 v[14:15], 2, v[14:15]
	v_lshlrev_b64 v[16:17], 2, v[16:17]
	s_delay_alu instid0(VALU_DEP_3)
	v_lshlrev_b64 v[18:19], 2, v[18:19]
	v_add_co_u32 v12, vcc_lo, s14, v12
	v_add_co_ci_u32_e32 v13, vcc_lo, s15, v13, vcc_lo
	v_add_co_u32 v14, vcc_lo, s14, v14
	v_add_co_ci_u32_e32 v15, vcc_lo, s15, v15, vcc_lo
	global_load_b32 v22, v[12:13], off
	v_add_co_u32 v12, vcc_lo, s14, v16
	global_load_b32 v16, v[14:15], off
	v_add_co_ci_u32_e32 v13, vcc_lo, s15, v17, vcc_lo
	v_add_co_u32 v14, vcc_lo, s14, v18
	v_add_co_ci_u32_e32 v15, vcc_lo, s15, v19, vcc_lo
	global_load_b32 v12, v[12:13], off
	global_load_b32 v13, v[5:6], off offset:300
	global_load_b32 v14, v[14:15], off
	v_add_co_u32 v5, vcc_lo, 0x190, v5
	v_add_co_ci_u32_e32 v6, vcc_lo, 0, v6, vcc_lo
	v_add_co_u32 v7, vcc_lo, v7, 16
	v_add_co_ci_u32_e32 v8, vcc_lo, 0, v8, vcc_lo
	s_waitcnt vmcnt(4)
	v_fmac_f32_e32 v10, v3, v22
	s_waitcnt vmcnt(3)
	s_delay_alu instid0(VALU_DEP_1) | instskip(SKIP_1) | instid1(VALU_DEP_1)
	v_fmac_f32_e32 v10, v20, v16
	s_waitcnt vmcnt(2)
	v_fmac_f32_e32 v10, v21, v12
	s_waitcnt vmcnt(0)
	s_delay_alu instid0(VALU_DEP_1)
	v_fmac_f32_e32 v10, v13, v14
	s_and_not1_b32 exec_lo, exec_lo, s4
	s_cbranch_execnz .LBB1_15
; %bb.16:
	s_or_b32 exec_lo, exec_lo, s4
.LBB1_17:
	s_delay_alu instid0(SALU_CYCLE_1)
	s_or_b32 exec_lo, exec_lo, s1
.LBB1_18:
	s_delay_alu instid0(SALU_CYCLE_1)
	s_or_b32 exec_lo, exec_lo, s9
	v_lshlrev_b32_e32 v5, 2, v0
	v_cmp_gt_u32_e32 vcc_lo, 5, v9
	ds_bpermute_b32 v2, v5, v10 offset:20
	ds_bpermute_b32 v3, v5, v10 offset:40
	;; [unrolled: 1-line block ×4, first 2 shown]
	s_and_b32 exec_lo, exec_lo, vcc_lo
	s_cbranch_execz .LBB1_20
; %bb.19:
	v_mad_u64_u32 v[6:7], null, v1, 5, v[0:1]
	s_waitcnt lgkmcnt(3)
	v_add_f32_e32 v2, v10, v2
	s_delay_alu instid0(VALU_DEP_2) | instskip(NEXT) | instid1(VALU_DEP_1)
	v_ashrrev_i32_e32 v7, 31, v6
	v_lshlrev_b64 v[0:1], 2, v[6:7]
	s_delay_alu instid0(VALU_DEP_1) | instskip(NEXT) | instid1(VALU_DEP_2)
	v_add_co_u32 v0, vcc_lo, s2, v0
	v_add_co_ci_u32_e32 v1, vcc_lo, s3, v1, vcc_lo
	global_load_b32 v6, v[0:1], off
	s_waitcnt vmcnt(0) lgkmcnt(2)
	v_dual_add_f32 v2, v2, v3 :: v_dual_mul_f32 v3, s10, v6
	s_waitcnt lgkmcnt(1)
	s_delay_alu instid0(VALU_DEP_1) | instskip(SKIP_1) | instid1(VALU_DEP_1)
	v_add_f32_e32 v2, v2, v4
	s_waitcnt lgkmcnt(0)
	v_add_f32_e32 v2, v2, v5
	s_delay_alu instid0(VALU_DEP_1)
	v_fmac_f32_e32 v3, s8, v2
	global_store_b32 v[0:1], v3, off
.LBB1_20:
	s_nop 0
	s_sendmsg sendmsg(MSG_DEALLOC_VGPRS)
	s_endpgm
	.section	.rodata,"a",@progbits
	.p2align	6, 0x0
	.amdhsa_kernel _ZN9rocsparseL19sbsrxmvn_5x5_kernelILj256EL20rocsparse_direction_0EiiEEvT2_NS_24const_host_device_scalarIfEES2_PKS2_PKT1_S9_S6_PKfSB_S4_Pf21rocsparse_index_base_b
		.amdhsa_group_segment_fixed_size 0
		.amdhsa_private_segment_fixed_size 0
		.amdhsa_kernarg_size 352
		.amdhsa_user_sgpr_count 15
		.amdhsa_user_sgpr_dispatch_ptr 0
		.amdhsa_user_sgpr_queue_ptr 0
		.amdhsa_user_sgpr_kernarg_segment_ptr 1
		.amdhsa_user_sgpr_dispatch_id 0
		.amdhsa_user_sgpr_private_segment_size 0
		.amdhsa_wavefront_size32 1
		.amdhsa_uses_dynamic_stack 0
		.amdhsa_enable_private_segment 0
		.amdhsa_system_sgpr_workgroup_id_x 1
		.amdhsa_system_sgpr_workgroup_id_y 0
		.amdhsa_system_sgpr_workgroup_id_z 0
		.amdhsa_system_sgpr_workgroup_info 0
		.amdhsa_system_vgpr_workitem_id 1
		.amdhsa_next_free_vgpr 23
		.amdhsa_next_free_sgpr 16
		.amdhsa_reserve_vcc 1
		.amdhsa_float_round_mode_32 0
		.amdhsa_float_round_mode_16_64 0
		.amdhsa_float_denorm_mode_32 3
		.amdhsa_float_denorm_mode_16_64 3
		.amdhsa_dx10_clamp 1
		.amdhsa_ieee_mode 1
		.amdhsa_fp16_overflow 0
		.amdhsa_workgroup_processor_mode 1
		.amdhsa_memory_ordered 1
		.amdhsa_forward_progress 0
		.amdhsa_shared_vgpr_count 0
		.amdhsa_exception_fp_ieee_invalid_op 0
		.amdhsa_exception_fp_denorm_src 0
		.amdhsa_exception_fp_ieee_div_zero 0
		.amdhsa_exception_fp_ieee_overflow 0
		.amdhsa_exception_fp_ieee_underflow 0
		.amdhsa_exception_fp_ieee_inexact 0
		.amdhsa_exception_int_div_zero 0
	.end_amdhsa_kernel
	.section	.text._ZN9rocsparseL19sbsrxmvn_5x5_kernelILj256EL20rocsparse_direction_0EiiEEvT2_NS_24const_host_device_scalarIfEES2_PKS2_PKT1_S9_S6_PKfSB_S4_Pf21rocsparse_index_base_b,"axG",@progbits,_ZN9rocsparseL19sbsrxmvn_5x5_kernelILj256EL20rocsparse_direction_0EiiEEvT2_NS_24const_host_device_scalarIfEES2_PKS2_PKT1_S9_S6_PKfSB_S4_Pf21rocsparse_index_base_b,comdat
.Lfunc_end1:
	.size	_ZN9rocsparseL19sbsrxmvn_5x5_kernelILj256EL20rocsparse_direction_0EiiEEvT2_NS_24const_host_device_scalarIfEES2_PKS2_PKT1_S9_S6_PKfSB_S4_Pf21rocsparse_index_base_b, .Lfunc_end1-_ZN9rocsparseL19sbsrxmvn_5x5_kernelILj256EL20rocsparse_direction_0EiiEEvT2_NS_24const_host_device_scalarIfEES2_PKS2_PKT1_S9_S6_PKfSB_S4_Pf21rocsparse_index_base_b
                                        ; -- End function
	.section	.AMDGPU.csdata,"",@progbits
; Kernel info:
; codeLenInByte = 1396
; NumSgprs: 18
; NumVgprs: 23
; ScratchSize: 0
; MemoryBound: 0
; FloatMode: 240
; IeeeMode: 1
; LDSByteSize: 0 bytes/workgroup (compile time only)
; SGPRBlocks: 2
; VGPRBlocks: 2
; NumSGPRsForWavesPerEU: 18
; NumVGPRsForWavesPerEU: 23
; Occupancy: 16
; WaveLimiterHint : 1
; COMPUTE_PGM_RSRC2:SCRATCH_EN: 0
; COMPUTE_PGM_RSRC2:USER_SGPR: 15
; COMPUTE_PGM_RSRC2:TRAP_HANDLER: 0
; COMPUTE_PGM_RSRC2:TGID_X_EN: 1
; COMPUTE_PGM_RSRC2:TGID_Y_EN: 0
; COMPUTE_PGM_RSRC2:TGID_Z_EN: 0
; COMPUTE_PGM_RSRC2:TIDIG_COMP_CNT: 1
	.section	.text._ZN9rocsparseL19sbsrxmvn_5x5_kernelILj256EL20rocsparse_direction_1EiiEEvT2_NS_24const_host_device_scalarIfEES2_PKS2_PKT1_S9_S6_PKfSB_S4_Pf21rocsparse_index_base_b,"axG",@progbits,_ZN9rocsparseL19sbsrxmvn_5x5_kernelILj256EL20rocsparse_direction_1EiiEEvT2_NS_24const_host_device_scalarIfEES2_PKS2_PKT1_S9_S6_PKfSB_S4_Pf21rocsparse_index_base_b,comdat
	.globl	_ZN9rocsparseL19sbsrxmvn_5x5_kernelILj256EL20rocsparse_direction_1EiiEEvT2_NS_24const_host_device_scalarIfEES2_PKS2_PKT1_S9_S6_PKfSB_S4_Pf21rocsparse_index_base_b ; -- Begin function _ZN9rocsparseL19sbsrxmvn_5x5_kernelILj256EL20rocsparse_direction_1EiiEEvT2_NS_24const_host_device_scalarIfEES2_PKS2_PKT1_S9_S6_PKfSB_S4_Pf21rocsparse_index_base_b
	.p2align	8
	.type	_ZN9rocsparseL19sbsrxmvn_5x5_kernelILj256EL20rocsparse_direction_1EiiEEvT2_NS_24const_host_device_scalarIfEES2_PKS2_PKT1_S9_S6_PKfSB_S4_Pf21rocsparse_index_base_b,@function
_ZN9rocsparseL19sbsrxmvn_5x5_kernelILj256EL20rocsparse_direction_1EiiEEvT2_NS_24const_host_device_scalarIfEES2_PKS2_PKT1_S9_S6_PKfSB_S4_Pf21rocsparse_index_base_b: ; @_ZN9rocsparseL19sbsrxmvn_5x5_kernelILj256EL20rocsparse_direction_1EiiEEvT2_NS_24const_host_device_scalarIfEES2_PKS2_PKT1_S9_S6_PKfSB_S4_Pf21rocsparse_index_base_b
; %bb.0:
	s_clause 0x2
	s_load_b64 s[12:13], s[0:1], 0x58
	s_load_b64 s[8:9], s[0:1], 0x8
	;; [unrolled: 1-line block ×3, first 2 shown]
	s_waitcnt lgkmcnt(0)
	s_bitcmp1_b32 s13, 0
	s_cselect_b32 s2, -1, 0
	s_delay_alu instid0(SALU_CYCLE_1)
	s_and_b32 vcc_lo, exec_lo, s2
	s_xor_b32 s2, s2, -1
	s_cbranch_vccnz .LBB2_2
; %bb.1:
	s_load_b32 s8, s[8:9], 0x0
.LBB2_2:
	s_and_not1_b32 vcc_lo, exec_lo, s2
	s_cbranch_vccnz .LBB2_4
; %bb.3:
	s_load_b32 s10, s[10:11], 0x0
.LBB2_4:
	s_waitcnt lgkmcnt(0)
	v_cmp_neq_f32_e64 s2, s8, 0
	v_cmp_neq_f32_e64 s3, s10, 1.0
	s_delay_alu instid0(VALU_DEP_1) | instskip(NEXT) | instid1(SALU_CYCLE_1)
	s_or_b32 s2, s2, s3
	s_and_not1_b32 vcc_lo, exec_lo, s2
	s_cbranch_vccnz .LBB2_20
; %bb.5:
	s_clause 0x1
	s_load_b32 s4, s[0:1], 0x6c
	s_load_b64 s[2:3], s[0:1], 0x18
	v_bfe_u32 v3, v0, 10, 10
	s_waitcnt lgkmcnt(0)
	s_lshr_b32 s4, s4, 16
	s_cmp_eq_u64 s[2:3], 0
	s_delay_alu instid0(VALU_DEP_1)
	v_mad_u64_u32 v[1:2], null, s15, s4, v[3:4]
	s_cbranch_scc1 .LBB2_7
; %bb.6:
	s_delay_alu instid0(VALU_DEP_1) | instskip(NEXT) | instid1(VALU_DEP_1)
	v_ashrrev_i32_e32 v2, 31, v1
	v_lshlrev_b64 v[1:2], 2, v[1:2]
	s_delay_alu instid0(VALU_DEP_1) | instskip(NEXT) | instid1(VALU_DEP_2)
	v_add_co_u32 v1, vcc_lo, s2, v1
	v_add_co_ci_u32_e32 v2, vcc_lo, s3, v2, vcc_lo
	global_load_b32 v1, v[1:2], off
	s_waitcnt vmcnt(0)
	v_subrev_nc_u32_e32 v1, s12, v1
.LBB2_7:
	s_load_b32 s2, s[0:1], 0x0
	v_and_b32_e32 v9, 0x3ff, v0
	s_waitcnt lgkmcnt(0)
	s_delay_alu instid0(VALU_DEP_2) | instskip(NEXT) | instid1(VALU_DEP_2)
	v_cmp_gt_i32_e32 vcc_lo, s2, v1
	v_cmp_gt_u32_e64 s2, 25, v9
	s_delay_alu instid0(VALU_DEP_1) | instskip(NEXT) | instid1(SALU_CYCLE_1)
	s_and_b32 s2, s2, vcc_lo
	s_and_saveexec_b32 s3, s2
	s_cbranch_execz .LBB2_20
; %bb.8:
	s_clause 0x1
	s_load_b128 s[4:7], s[0:1], 0x20
	s_load_b64 s[2:3], s[0:1], 0x50
	v_ashrrev_i32_e32 v2, 31, v1
	v_mov_b32_e32 v10, 0
	s_mov_b32 s9, exec_lo
	s_delay_alu instid0(VALU_DEP_2) | instskip(SKIP_1) | instid1(VALU_DEP_1)
	v_lshlrev_b64 v[2:3], 2, v[1:2]
	s_waitcnt lgkmcnt(0)
	v_add_co_u32 v4, vcc_lo, s4, v2
	s_delay_alu instid0(VALU_DEP_2) | instskip(SKIP_2) | instid1(VALU_DEP_4)
	v_add_co_ci_u32_e32 v5, vcc_lo, s5, v3, vcc_lo
	v_add_co_u32 v0, vcc_lo, s6, v2
	v_add_co_ci_u32_e32 v2, vcc_lo, s7, v3, vcc_lo
	v_add_co_u32 v6, vcc_lo, v4, 4
	s_delay_alu instid0(VALU_DEP_4) | instskip(SKIP_2) | instid1(VALU_DEP_1)
	v_add_co_ci_u32_e32 v3, vcc_lo, 0, v5, vcc_lo
	s_cmp_eq_u64 s[6:7], 0
	s_cselect_b32 vcc_lo, -1, 0
	v_dual_cndmask_b32 v3, v2, v3 :: v_dual_cndmask_b32 v2, v0, v6
	global_load_b32 v12, v[4:5], off
	global_load_b32 v4, v[2:3], off
	v_mul_u32_u24_e32 v0, 0x3334, v9
	s_delay_alu instid0(VALU_DEP_1) | instskip(NEXT) | instid1(VALU_DEP_1)
	v_lshrrev_b32_e32 v3, 16, v0
	v_mul_lo_u16 v0, v3, 5
	s_delay_alu instid0(VALU_DEP_1) | instskip(NEXT) | instid1(VALU_DEP_1)
	v_sub_nc_u16 v0, v9, v0
	v_and_b32_e32 v0, 0xffff, v0
	s_waitcnt vmcnt(0)
	v_cmpx_lt_i32_e64 v12, v4
	s_cbranch_execz .LBB2_18
; %bb.9:
	v_subrev_nc_u32_e32 v2, s12, v12
	s_clause 0x1
	s_load_b128 s[4:7], s[0:1], 0x30
	s_load_b64 s[14:15], s[0:1], 0x40
	v_subrev_nc_u32_e32 v11, s12, v4
	v_and_b32_e32 v4, 0xffff, v3
	v_dual_mov_b32 v10, 0 :: v_dual_add_nc_u32 v5, 1, v2
	s_mov_b32 s1, exec_lo
	s_delay_alu instid0(VALU_DEP_1) | instskip(NEXT) | instid1(VALU_DEP_3)
	v_max_i32_e32 v3, v5, v11
	v_mul_u32_u24_e32 v5, 5, v4
	s_delay_alu instid0(VALU_DEP_2) | instskip(NEXT) | instid1(VALU_DEP_2)
	v_add_nc_u32_e32 v13, s12, v3
	v_add_lshl_u32 v3, v5, v0, 2
	s_delay_alu instid0(VALU_DEP_2) | instskip(SKIP_1) | instid1(VALU_DEP_2)
	v_sub_nc_u32_e32 v5, v13, v12
	s_waitcnt lgkmcnt(0)
	v_add_co_u32 v14, s0, s6, v3
	s_delay_alu instid0(VALU_DEP_1) | instskip(NEXT) | instid1(VALU_DEP_3)
	v_add_co_ci_u32_e64 v15, null, s7, 0, s0
	v_and_b32_e32 v7, 3, v5
	s_mov_b32 s6, 0
	s_delay_alu instid0(VALU_DEP_2) | instskip(NEXT) | instid1(VALU_DEP_2)
	v_mad_i64_i32 v[5:6], null, 0x64, v2, v[14:15]
	v_cmpx_ne_u32_e32 0, v7
	s_cbranch_execz .LBB2_13
; %bb.10:
	v_ashrrev_i32_e32 v3, 31, v2
	v_mov_b32_e32 v10, 0
	s_delay_alu instid0(VALU_DEP_2) | instskip(SKIP_1) | instid1(VALU_DEP_2)
	v_lshlrev_b64 v[14:15], 2, v[2:3]
	v_mul_u32_u24_e32 v3, 0x64, v7
	v_add_co_u32 v7, vcc_lo, s4, v14
	s_delay_alu instid0(VALU_DEP_3)
	v_add_co_ci_u32_e32 v8, vcc_lo, s5, v15, vcc_lo
	.p2align	6
.LBB2_11:                               ; =>This Inner Loop Header: Depth=1
	global_load_b32 v14, v[7:8], off
	v_add_nc_u32_e32 v2, 1, v2
	s_waitcnt vmcnt(0)
	v_subrev_nc_u32_e32 v16, s12, v14
	s_delay_alu instid0(VALU_DEP_1) | instskip(NEXT) | instid1(VALU_DEP_1)
	v_mad_u64_u32 v[14:15], null, v16, 5, v[4:5]
	v_ashrrev_i32_e32 v15, 31, v14
	s_delay_alu instid0(VALU_DEP_1) | instskip(NEXT) | instid1(VALU_DEP_1)
	v_lshlrev_b64 v[14:15], 2, v[14:15]
	v_add_co_u32 v14, vcc_lo, s14, v14
	s_delay_alu instid0(VALU_DEP_2)
	v_add_co_ci_u32_e32 v15, vcc_lo, s15, v15, vcc_lo
	global_load_b32 v16, v[5:6], off
	global_load_b32 v14, v[14:15], off
	v_add_nc_u32_e32 v3, 0xffffff9c, v3
	v_add_co_u32 v5, vcc_lo, 0x64, v5
	v_add_co_ci_u32_e32 v6, vcc_lo, 0, v6, vcc_lo
	v_add_co_u32 v7, vcc_lo, v7, 4
	v_add_co_ci_u32_e32 v8, vcc_lo, 0, v8, vcc_lo
	s_waitcnt vmcnt(0)
	v_fmac_f32_e32 v10, v16, v14
	v_cmp_eq_u32_e64 s0, 0, v3
	s_delay_alu instid0(VALU_DEP_1) | instskip(NEXT) | instid1(SALU_CYCLE_1)
	s_or_b32 s6, s0, s6
	s_and_not1_b32 exec_lo, exec_lo, s6
	s_cbranch_execnz .LBB2_11
; %bb.12:
	s_or_b32 exec_lo, exec_lo, s6
.LBB2_13:
	s_delay_alu instid0(SALU_CYCLE_1) | instskip(SKIP_2) | instid1(VALU_DEP_1)
	s_or_b32 exec_lo, exec_lo, s1
	v_sub_nc_u32_e32 v3, v12, v13
	s_mov_b32 s1, exec_lo
	v_cmpx_gt_u32_e32 -3, v3
	s_cbranch_execz .LBB2_17
; %bb.14:
	v_ashrrev_i32_e32 v3, 31, v2
	s_delay_alu instid0(VALU_DEP_1) | instskip(NEXT) | instid1(VALU_DEP_1)
	v_lshlrev_b64 v[7:8], 2, v[2:3]
	v_add_co_u32 v3, vcc_lo, v7, s4
	s_delay_alu instid0(VALU_DEP_2) | instskip(SKIP_1) | instid1(VALU_DEP_2)
	v_add_co_ci_u32_e32 v8, vcc_lo, s5, v8, vcc_lo
	s_mov_b32 s4, 0
	v_add_co_u32 v7, vcc_lo, v3, 8
	s_delay_alu instid0(VALU_DEP_2)
	v_add_co_ci_u32_e32 v8, vcc_lo, 0, v8, vcc_lo
.LBB2_15:                               ; =>This Inner Loop Header: Depth=1
	global_load_b128 v[12:15], v[7:8], off offset:-8
	s_clause 0x2
	global_load_b32 v3, v[5:6], off
	global_load_b32 v20, v[5:6], off offset:100
	global_load_b32 v21, v[5:6], off offset:200
	v_add_nc_u32_e32 v2, 4, v2
	s_delay_alu instid0(VALU_DEP_1) | instskip(NEXT) | instid1(VALU_DEP_1)
	v_cmp_ge_i32_e64 s0, v2, v11
	s_or_b32 s4, s0, s4
	s_waitcnt vmcnt(3)
	v_subrev_nc_u32_e32 v16, s12, v12
	v_subrev_nc_u32_e32 v17, s12, v13
	;; [unrolled: 1-line block ×4, first 2 shown]
	s_delay_alu instid0(VALU_DEP_4) | instskip(NEXT) | instid1(VALU_DEP_4)
	v_mad_u64_u32 v[12:13], null, v16, 5, v[4:5]
	v_mad_u64_u32 v[14:15], null, v17, 5, v[4:5]
	s_delay_alu instid0(VALU_DEP_4) | instskip(NEXT) | instid1(VALU_DEP_4)
	v_mad_u64_u32 v[16:17], null, v18, 5, v[4:5]
	v_mad_u64_u32 v[18:19], null, v22, 5, v[4:5]
	s_delay_alu instid0(VALU_DEP_4) | instskip(NEXT) | instid1(VALU_DEP_4)
	v_ashrrev_i32_e32 v13, 31, v12
	v_ashrrev_i32_e32 v15, 31, v14
	s_delay_alu instid0(VALU_DEP_4) | instskip(NEXT) | instid1(VALU_DEP_3)
	v_ashrrev_i32_e32 v17, 31, v16
	v_lshlrev_b64 v[12:13], 2, v[12:13]
	v_ashrrev_i32_e32 v19, 31, v18
	s_delay_alu instid0(VALU_DEP_4) | instskip(NEXT) | instid1(VALU_DEP_4)
	v_lshlrev_b64 v[14:15], 2, v[14:15]
	v_lshlrev_b64 v[16:17], 2, v[16:17]
	s_delay_alu instid0(VALU_DEP_3)
	v_lshlrev_b64 v[18:19], 2, v[18:19]
	v_add_co_u32 v12, vcc_lo, s14, v12
	v_add_co_ci_u32_e32 v13, vcc_lo, s15, v13, vcc_lo
	v_add_co_u32 v14, vcc_lo, s14, v14
	v_add_co_ci_u32_e32 v15, vcc_lo, s15, v15, vcc_lo
	global_load_b32 v22, v[12:13], off
	v_add_co_u32 v12, vcc_lo, s14, v16
	global_load_b32 v16, v[14:15], off
	v_add_co_ci_u32_e32 v13, vcc_lo, s15, v17, vcc_lo
	v_add_co_u32 v14, vcc_lo, s14, v18
	v_add_co_ci_u32_e32 v15, vcc_lo, s15, v19, vcc_lo
	global_load_b32 v12, v[12:13], off
	global_load_b32 v13, v[5:6], off offset:300
	global_load_b32 v14, v[14:15], off
	v_add_co_u32 v5, vcc_lo, 0x190, v5
	v_add_co_ci_u32_e32 v6, vcc_lo, 0, v6, vcc_lo
	v_add_co_u32 v7, vcc_lo, v7, 16
	v_add_co_ci_u32_e32 v8, vcc_lo, 0, v8, vcc_lo
	s_waitcnt vmcnt(4)
	v_fmac_f32_e32 v10, v3, v22
	s_waitcnt vmcnt(3)
	s_delay_alu instid0(VALU_DEP_1) | instskip(SKIP_1) | instid1(VALU_DEP_1)
	v_fmac_f32_e32 v10, v20, v16
	s_waitcnt vmcnt(2)
	v_fmac_f32_e32 v10, v21, v12
	s_waitcnt vmcnt(0)
	s_delay_alu instid0(VALU_DEP_1)
	v_fmac_f32_e32 v10, v13, v14
	s_and_not1_b32 exec_lo, exec_lo, s4
	s_cbranch_execnz .LBB2_15
; %bb.16:
	s_or_b32 exec_lo, exec_lo, s4
.LBB2_17:
	s_delay_alu instid0(SALU_CYCLE_1)
	s_or_b32 exec_lo, exec_lo, s1
.LBB2_18:
	s_delay_alu instid0(SALU_CYCLE_1)
	s_or_b32 exec_lo, exec_lo, s9
	v_lshlrev_b32_e32 v5, 2, v0
	v_cmp_gt_u32_e32 vcc_lo, 5, v9
	ds_bpermute_b32 v2, v5, v10 offset:20
	ds_bpermute_b32 v3, v5, v10 offset:40
	;; [unrolled: 1-line block ×4, first 2 shown]
	s_and_b32 exec_lo, exec_lo, vcc_lo
	s_cbranch_execz .LBB2_20
; %bb.19:
	v_mad_u64_u32 v[6:7], null, v1, 5, v[0:1]
	s_waitcnt lgkmcnt(3)
	v_add_f32_e32 v2, v10, v2
	s_delay_alu instid0(VALU_DEP_2) | instskip(NEXT) | instid1(VALU_DEP_1)
	v_ashrrev_i32_e32 v7, 31, v6
	v_lshlrev_b64 v[0:1], 2, v[6:7]
	s_delay_alu instid0(VALU_DEP_1) | instskip(NEXT) | instid1(VALU_DEP_2)
	v_add_co_u32 v0, vcc_lo, s2, v0
	v_add_co_ci_u32_e32 v1, vcc_lo, s3, v1, vcc_lo
	global_load_b32 v6, v[0:1], off
	s_waitcnt vmcnt(0) lgkmcnt(2)
	v_dual_add_f32 v2, v2, v3 :: v_dual_mul_f32 v3, s10, v6
	s_waitcnt lgkmcnt(1)
	s_delay_alu instid0(VALU_DEP_1) | instskip(SKIP_1) | instid1(VALU_DEP_1)
	v_add_f32_e32 v2, v2, v4
	s_waitcnt lgkmcnt(0)
	v_add_f32_e32 v2, v2, v5
	s_delay_alu instid0(VALU_DEP_1)
	v_fmac_f32_e32 v3, s8, v2
	global_store_b32 v[0:1], v3, off
.LBB2_20:
	s_nop 0
	s_sendmsg sendmsg(MSG_DEALLOC_VGPRS)
	s_endpgm
	.section	.rodata,"a",@progbits
	.p2align	6, 0x0
	.amdhsa_kernel _ZN9rocsparseL19sbsrxmvn_5x5_kernelILj256EL20rocsparse_direction_1EiiEEvT2_NS_24const_host_device_scalarIfEES2_PKS2_PKT1_S9_S6_PKfSB_S4_Pf21rocsparse_index_base_b
		.amdhsa_group_segment_fixed_size 0
		.amdhsa_private_segment_fixed_size 0
		.amdhsa_kernarg_size 352
		.amdhsa_user_sgpr_count 15
		.amdhsa_user_sgpr_dispatch_ptr 0
		.amdhsa_user_sgpr_queue_ptr 0
		.amdhsa_user_sgpr_kernarg_segment_ptr 1
		.amdhsa_user_sgpr_dispatch_id 0
		.amdhsa_user_sgpr_private_segment_size 0
		.amdhsa_wavefront_size32 1
		.amdhsa_uses_dynamic_stack 0
		.amdhsa_enable_private_segment 0
		.amdhsa_system_sgpr_workgroup_id_x 1
		.amdhsa_system_sgpr_workgroup_id_y 0
		.amdhsa_system_sgpr_workgroup_id_z 0
		.amdhsa_system_sgpr_workgroup_info 0
		.amdhsa_system_vgpr_workitem_id 1
		.amdhsa_next_free_vgpr 23
		.amdhsa_next_free_sgpr 16
		.amdhsa_reserve_vcc 1
		.amdhsa_float_round_mode_32 0
		.amdhsa_float_round_mode_16_64 0
		.amdhsa_float_denorm_mode_32 3
		.amdhsa_float_denorm_mode_16_64 3
		.amdhsa_dx10_clamp 1
		.amdhsa_ieee_mode 1
		.amdhsa_fp16_overflow 0
		.amdhsa_workgroup_processor_mode 1
		.amdhsa_memory_ordered 1
		.amdhsa_forward_progress 0
		.amdhsa_shared_vgpr_count 0
		.amdhsa_exception_fp_ieee_invalid_op 0
		.amdhsa_exception_fp_denorm_src 0
		.amdhsa_exception_fp_ieee_div_zero 0
		.amdhsa_exception_fp_ieee_overflow 0
		.amdhsa_exception_fp_ieee_underflow 0
		.amdhsa_exception_fp_ieee_inexact 0
		.amdhsa_exception_int_div_zero 0
	.end_amdhsa_kernel
	.section	.text._ZN9rocsparseL19sbsrxmvn_5x5_kernelILj256EL20rocsparse_direction_1EiiEEvT2_NS_24const_host_device_scalarIfEES2_PKS2_PKT1_S9_S6_PKfSB_S4_Pf21rocsparse_index_base_b,"axG",@progbits,_ZN9rocsparseL19sbsrxmvn_5x5_kernelILj256EL20rocsparse_direction_1EiiEEvT2_NS_24const_host_device_scalarIfEES2_PKS2_PKT1_S9_S6_PKfSB_S4_Pf21rocsparse_index_base_b,comdat
.Lfunc_end2:
	.size	_ZN9rocsparseL19sbsrxmvn_5x5_kernelILj256EL20rocsparse_direction_1EiiEEvT2_NS_24const_host_device_scalarIfEES2_PKS2_PKT1_S9_S6_PKfSB_S4_Pf21rocsparse_index_base_b, .Lfunc_end2-_ZN9rocsparseL19sbsrxmvn_5x5_kernelILj256EL20rocsparse_direction_1EiiEEvT2_NS_24const_host_device_scalarIfEES2_PKS2_PKT1_S9_S6_PKfSB_S4_Pf21rocsparse_index_base_b
                                        ; -- End function
	.section	.AMDGPU.csdata,"",@progbits
; Kernel info:
; codeLenInByte = 1396
; NumSgprs: 18
; NumVgprs: 23
; ScratchSize: 0
; MemoryBound: 0
; FloatMode: 240
; IeeeMode: 1
; LDSByteSize: 0 bytes/workgroup (compile time only)
; SGPRBlocks: 2
; VGPRBlocks: 2
; NumSGPRsForWavesPerEU: 18
; NumVGPRsForWavesPerEU: 23
; Occupancy: 16
; WaveLimiterHint : 1
; COMPUTE_PGM_RSRC2:SCRATCH_EN: 0
; COMPUTE_PGM_RSRC2:USER_SGPR: 15
; COMPUTE_PGM_RSRC2:TRAP_HANDLER: 0
; COMPUTE_PGM_RSRC2:TGID_X_EN: 1
; COMPUTE_PGM_RSRC2:TGID_Y_EN: 0
; COMPUTE_PGM_RSRC2:TGID_Z_EN: 0
; COMPUTE_PGM_RSRC2:TIDIG_COMP_CNT: 1
	.section	.text._ZN9rocsparseL18bsrxmvn_5x5_kernelILj50EdiidddEEvT2_20rocsparse_direction_NS_24const_host_device_scalarIT0_EES1_PKS1_PKT1_SA_S7_PKT3_PKT4_S5_PT5_21rocsparse_index_base_b,"axG",@progbits,_ZN9rocsparseL18bsrxmvn_5x5_kernelILj50EdiidddEEvT2_20rocsparse_direction_NS_24const_host_device_scalarIT0_EES1_PKS1_PKT1_SA_S7_PKT3_PKT4_S5_PT5_21rocsparse_index_base_b,comdat
	.globl	_ZN9rocsparseL18bsrxmvn_5x5_kernelILj50EdiidddEEvT2_20rocsparse_direction_NS_24const_host_device_scalarIT0_EES1_PKS1_PKT1_SA_S7_PKT3_PKT4_S5_PT5_21rocsparse_index_base_b ; -- Begin function _ZN9rocsparseL18bsrxmvn_5x5_kernelILj50EdiidddEEvT2_20rocsparse_direction_NS_24const_host_device_scalarIT0_EES1_PKS1_PKT1_SA_S7_PKT3_PKT4_S5_PT5_21rocsparse_index_base_b
	.p2align	8
	.type	_ZN9rocsparseL18bsrxmvn_5x5_kernelILj50EdiidddEEvT2_20rocsparse_direction_NS_24const_host_device_scalarIT0_EES1_PKS1_PKT1_SA_S7_PKT3_PKT4_S5_PT5_21rocsparse_index_base_b,@function
_ZN9rocsparseL18bsrxmvn_5x5_kernelILj50EdiidddEEvT2_20rocsparse_direction_NS_24const_host_device_scalarIT0_EES1_PKS1_PKT1_SA_S7_PKT3_PKT4_S5_PT5_21rocsparse_index_base_b: ; @_ZN9rocsparseL18bsrxmvn_5x5_kernelILj50EdiidddEEvT2_20rocsparse_direction_NS_24const_host_device_scalarIT0_EES1_PKS1_PKT1_SA_S7_PKT3_PKT4_S5_PT5_21rocsparse_index_base_b
; %bb.0:
	s_clause 0x2
	s_load_b64 s[10:11], s[0:1], 0x58
	s_load_b64 s[4:5], s[0:1], 0x8
	;; [unrolled: 1-line block ×3, first 2 shown]
	s_mov_b32 s8, s15
	s_waitcnt lgkmcnt(0)
	s_bitcmp1_b32 s11, 0
	v_dual_mov_b32 v3, s4 :: v_dual_mov_b32 v4, s5
	s_cselect_b32 s6, -1, 0
	s_delay_alu instid0(SALU_CYCLE_1)
	s_and_b32 vcc_lo, exec_lo, s6
	s_xor_b32 s6, s6, -1
	s_cbranch_vccnz .LBB3_2
; %bb.1:
	v_dual_mov_b32 v1, s4 :: v_dual_mov_b32 v2, s5
	flat_load_b64 v[3:4], v[1:2]
.LBB3_2:
	v_dual_mov_b32 v1, s2 :: v_dual_mov_b32 v2, s3
	s_and_not1_b32 vcc_lo, exec_lo, s6
	s_cbranch_vccnz .LBB3_4
; %bb.3:
	v_dual_mov_b32 v1, s2 :: v_dual_mov_b32 v2, s3
	flat_load_b64 v[1:2], v[1:2]
.LBB3_4:
	s_waitcnt vmcnt(0) lgkmcnt(0)
	v_cmp_neq_f64_e32 vcc_lo, 0, v[3:4]
	v_cmp_neq_f64_e64 s2, 1.0, v[1:2]
	s_delay_alu instid0(VALU_DEP_1) | instskip(NEXT) | instid1(SALU_CYCLE_1)
	s_or_b32 s2, vcc_lo, s2
	s_and_saveexec_b32 s3, s2
	s_cbranch_execz .LBB3_34
; %bb.5:
	s_clause 0x1
	s_load_b128 s[4:7], s[0:1], 0x18
	s_load_b64 s[2:3], s[0:1], 0x28
	s_waitcnt lgkmcnt(0)
	s_cmp_eq_u64 s[4:5], 0
	s_cbranch_scc1 .LBB3_7
; %bb.6:
	s_ashr_i32 s9, s8, 31
	s_delay_alu instid0(SALU_CYCLE_1) | instskip(NEXT) | instid1(SALU_CYCLE_1)
	s_lshl_b64 s[8:9], s[8:9], 2
	s_add_u32 s4, s4, s8
	s_addc_u32 s5, s5, s9
	s_load_b32 s4, s[4:5], 0x0
	s_waitcnt lgkmcnt(0)
	s_sub_i32 s8, s4, s10
.LBB3_7:
	s_load_b32 s4, s[0:1], 0x4
	v_mul_u32_u24_e32 v5, 0x3334, v0
	s_delay_alu instid0(VALU_DEP_1) | instskip(SKIP_2) | instid1(VALU_DEP_3)
	v_lshrrev_b32_e32 v7, 16, v5
	v_mov_b32_e32 v5, 0
	v_mov_b32_e32 v6, 0
	v_mul_lo_u16 v8, v7, 5
	s_delay_alu instid0(VALU_DEP_1)
	v_sub_nc_u16 v12, v0, v8
	s_waitcnt lgkmcnt(0)
	s_cmp_eq_u32 s4, 1
	s_cselect_b32 vcc_lo, -1, 0
	s_cmp_lg_u32 s4, 1
	s_cselect_b32 s11, -1, 0
	s_ashr_i32 s9, s8, 31
	s_delay_alu instid0(SALU_CYCLE_1) | instskip(NEXT) | instid1(SALU_CYCLE_1)
	s_lshl_b64 s[4:5], s[8:9], 2
	s_add_u32 s6, s6, s4
	s_addc_u32 s7, s7, s5
	s_add_u32 s9, s6, 4
	s_addc_u32 s12, s7, 0
	;; [unrolled: 2-line block ×3, first 2 shown]
	s_cmp_eq_u64 s[2:3], 0
	s_cselect_b32 s3, s12, s5
	s_cselect_b32 s2, s9, s4
	s_load_b32 s12, s[6:7], 0x0
	s_load_b32 s9, s[2:3], 0x0
	s_load_b64 s[2:3], s[0:1], 0x50
	s_waitcnt lgkmcnt(0)
	s_cmp_ge_i32 s12, s9
	s_cbranch_scc1 .LBB3_12
; %bb.8:
	v_mul_lo_u16 v5, v7, 52
	s_clause 0x1
	s_load_b128 s[4:7], s[0:1], 0x30
	s_load_b64 s[0:1], s[0:1], 0x40
	s_mul_i32 s13, s10, 25
	s_sub_i32 s9, s9, s10
	v_lshrrev_b16 v5, 8, v5
	s_delay_alu instid0(VALU_DEP_1) | instskip(NEXT) | instid1(VALU_DEP_1)
	v_mul_lo_u16 v5, v5, 5
	v_sub_nc_u16 v5, v7, v5
	v_mad_u64_u32 v[7:8], null, s12, 25, v[0:1]
	v_and_b32_e32 v8, 0xffff, v12
	s_sub_i32 s12, s12, s10
	s_delay_alu instid0(VALU_DEP_3) | instskip(SKIP_1) | instid1(VALU_DEP_4)
	v_and_b32_e32 v10, 0xff, v5
	v_and_b32_e32 v6, 0xffff, v0
	v_subrev_nc_u32_e32 v7, s13, v7
	s_delay_alu instid0(VALU_DEP_2) | instskip(SKIP_2) | instid1(VALU_DEP_3)
	v_mul_u32_u24_e32 v9, 0xa3e, v6
	v_mov_b32_e32 v5, 0
	v_mov_b32_e32 v6, 0
	v_lshrrev_b32_e32 v13, 16, v9
	v_dual_cndmask_b32 v9, v8, v10 :: v_dual_mov_b32 v8, 0
	s_set_inst_prefetch_distance 0x1
	s_branch .LBB3_10
	.p2align	6
.LBB3_9:                                ;   in Loop: Header=BB3_10 Depth=1
	s_or_b32 exec_lo, exec_lo, s13
	v_add_nc_u32_e32 v7, 50, v7
	s_add_i32 s12, s12, 2
	s_delay_alu instid0(SALU_CYCLE_1)
	s_cmp_ge_i32 s12, s9
	s_cbranch_scc1 .LBB3_12
.LBB3_10:                               ; =>This Inner Loop Header: Depth=1
	s_delay_alu instid0(VALU_DEP_2) | instskip(SKIP_1) | instid1(VALU_DEP_1)
	v_add_nc_u32_e32 v10, s12, v13
	s_mov_b32 s13, exec_lo
	v_cmpx_gt_i32_e64 s9, v10
	s_cbranch_execz .LBB3_9
; %bb.11:                               ;   in Loop: Header=BB3_10 Depth=1
	v_ashrrev_i32_e32 v11, 31, v10
	s_delay_alu instid0(VALU_DEP_1) | instskip(SKIP_1) | instid1(VALU_DEP_1)
	v_lshlrev_b64 v[10:11], 2, v[10:11]
	s_waitcnt lgkmcnt(0)
	v_add_co_u32 v10, vcc_lo, s4, v10
	s_delay_alu instid0(VALU_DEP_2) | instskip(SKIP_3) | instid1(VALU_DEP_1)
	v_add_co_ci_u32_e32 v11, vcc_lo, s5, v11, vcc_lo
	global_load_b32 v10, v[10:11], off
	s_waitcnt vmcnt(0)
	v_subrev_nc_u32_e32 v14, s10, v10
	v_mad_u64_u32 v[10:11], null, v14, 5, v[9:10]
	v_lshlrev_b64 v[14:15], 3, v[7:8]
	s_delay_alu instid0(VALU_DEP_1) | instskip(NEXT) | instid1(VALU_DEP_3)
	v_add_co_u32 v14, vcc_lo, s6, v14
	v_ashrrev_i32_e32 v11, 31, v10
	s_delay_alu instid0(VALU_DEP_3) | instskip(NEXT) | instid1(VALU_DEP_2)
	v_add_co_ci_u32_e32 v15, vcc_lo, s7, v15, vcc_lo
	v_lshlrev_b64 v[10:11], 3, v[10:11]
	s_delay_alu instid0(VALU_DEP_1) | instskip(NEXT) | instid1(VALU_DEP_2)
	v_add_co_u32 v10, vcc_lo, s0, v10
	v_add_co_ci_u32_e32 v11, vcc_lo, s1, v11, vcc_lo
	global_load_b64 v[14:15], v[14:15], off
	global_load_b64 v[10:11], v[10:11], off
	s_waitcnt vmcnt(0)
	v_fma_f64 v[5:6], v[14:15], v[10:11], v[5:6]
	s_branch .LBB3_9
.LBB3_12:
	s_set_inst_prefetch_distance 0x2
	v_lshlrev_b32_e32 v7, 3, v0
	s_and_b32 vcc_lo, exec_lo, s11
	ds_store_b64 v7, v[5:6]
	s_waitcnt lgkmcnt(0)
	buffer_gl0_inv
	s_cbranch_vccz .LBB3_22
; %bb.13:
	s_mov_b32 s0, exec_lo
	v_cmpx_gt_u32_e32 25, v0
	s_cbranch_execz .LBB3_15
; %bb.14:
	ds_load_2addr_b64 v[8:11], v7 offset1:25
	s_waitcnt lgkmcnt(0)
	v_add_f64 v[8:9], v[10:11], v[8:9]
	ds_store_b64 v7, v[8:9]
.LBB3_15:
	s_or_b32 exec_lo, exec_lo, s0
	s_delay_alu instid0(SALU_CYCLE_1)
	s_mov_b32 s0, exec_lo
	s_waitcnt lgkmcnt(0)
	buffer_gl0_inv
	v_cmpx_eq_u16_e32 0, v12
	s_cbranch_execz .LBB3_17
; %bb.16:
	ds_load_2addr_b64 v[8:11], v7 offset1:4
	s_waitcnt lgkmcnt(0)
	v_add_f64 v[8:9], v[10:11], v[8:9]
	ds_store_b64 v7, v[8:9]
.LBB3_17:
	s_or_b32 exec_lo, exec_lo, s0
	s_delay_alu instid0(SALU_CYCLE_1)
	s_mov_b32 s0, exec_lo
	s_waitcnt lgkmcnt(0)
	buffer_gl0_inv
	v_cmpx_gt_u16_e32 2, v12
	s_cbranch_execz .LBB3_19
; %bb.18:
	ds_load_2addr_b64 v[8:11], v7 offset1:2
	s_waitcnt lgkmcnt(0)
	v_add_f64 v[8:9], v[10:11], v[8:9]
	ds_store_b64 v7, v[8:9]
.LBB3_19:
	s_or_b32 exec_lo, exec_lo, s0
	s_mov_b32 s0, 0
	s_mov_b32 s1, 0
	s_mov_b32 s4, exec_lo
	s_waitcnt lgkmcnt(0)
	buffer_gl0_inv
                                        ; implicit-def: $vgpr8
                                        ; implicit-def: $vgpr9
	v_cmpx_gt_u32_e32 5, v0
	s_xor_b32 s4, exec_lo, s4
; %bb.20:
	v_mad_u32_u24 v8, v0, 5, 1
	v_lshl_add_u32 v9, v0, 5, v7
	s_mov_b32 s1, exec_lo
; %bb.21:
	s_or_b32 exec_lo, exec_lo, s4
	s_delay_alu instid0(SALU_CYCLE_1)
	s_and_b32 vcc_lo, exec_lo, s0
	s_cbranch_vccnz .LBB3_23
	s_branch .LBB3_32
.LBB3_22:
	s_mov_b32 s1, 0
                                        ; implicit-def: $vgpr8
                                        ; implicit-def: $vgpr9
	s_cbranch_execz .LBB3_32
.LBB3_23:
	v_cmp_gt_u32_e32 vcc_lo, 10, v0
	s_and_saveexec_b32 s0, vcc_lo
	s_cbranch_execz .LBB3_25
; %bb.24:
	ds_load_2addr_b64 v[8:11], v7 offset1:40
	s_waitcnt lgkmcnt(0)
	v_add_f64 v[8:9], v[10:11], v[8:9]
	ds_store_b64 v7, v[8:9]
.LBB3_25:
	s_or_b32 exec_lo, exec_lo, s0
	s_delay_alu instid0(SALU_CYCLE_1)
	s_mov_b32 s4, exec_lo
	s_waitcnt lgkmcnt(0)
	buffer_gl0_inv
	v_cmpx_gt_u32_e32 20, v0
	s_cbranch_execz .LBB3_27
; %bb.26:
	ds_load_2addr_b64 v[8:11], v7 offset1:20
	s_waitcnt lgkmcnt(0)
	v_add_f64 v[8:9], v[10:11], v[8:9]
	ds_store_b64 v7, v[8:9]
.LBB3_27:
	s_or_b32 exec_lo, exec_lo, s4
	s_waitcnt lgkmcnt(0)
	buffer_gl0_inv
	s_and_saveexec_b32 s0, vcc_lo
	s_cbranch_execz .LBB3_29
; %bb.28:
	ds_load_2addr_b64 v[8:11], v7 offset1:10
	s_waitcnt lgkmcnt(0)
	v_add_f64 v[8:9], v[10:11], v[8:9]
	ds_store_b64 v7, v[8:9]
.LBB3_29:
	s_or_b32 exec_lo, exec_lo, s0
	s_delay_alu instid0(SALU_CYCLE_1)
	s_mov_b32 s0, exec_lo
	s_waitcnt lgkmcnt(0)
	buffer_gl0_inv
                                        ; implicit-def: $vgpr8
	v_cmpx_gt_u32_e32 5, v0
; %bb.30:
	v_add_nc_u32_e32 v8, 5, v0
	s_or_b32 s1, s1, exec_lo
                                        ; implicit-def: $vgpr5_vgpr6
; %bb.31:
	s_or_b32 exec_lo, exec_lo, s0
	v_mov_b32_e32 v9, v7
.LBB3_32:
	s_and_saveexec_b32 s0, s1
	s_cbranch_execnz .LBB3_35
; %bb.33:
	s_or_b32 exec_lo, exec_lo, s0
	v_cmp_gt_u32_e32 vcc_lo, 5, v0
	s_and_b32 exec_lo, exec_lo, vcc_lo
	s_cbranch_execnz .LBB3_36
.LBB3_34:
	s_nop 0
	s_sendmsg sendmsg(MSG_DEALLOC_VGPRS)
	s_endpgm
.LBB3_35:
	v_lshlrev_b32_e32 v7, 3, v8
	ds_load_b64 v[5:6], v9
	ds_load_b64 v[7:8], v7
	s_waitcnt lgkmcnt(0)
	v_add_f64 v[5:6], v[5:6], v[7:8]
	s_or_b32 exec_lo, exec_lo, s0
	v_cmp_gt_u32_e32 vcc_lo, 5, v0
	s_and_b32 exec_lo, exec_lo, vcc_lo
	s_cbranch_execz .LBB3_34
.LBB3_36:
	s_delay_alu instid0(VALU_DEP_2)
	v_mul_f64 v[3:4], v[3:4], v[5:6]
	s_mov_b32 s0, exec_lo
	v_cmpx_eq_f64_e32 0, v[1:2]
	s_xor_b32 s0, exec_lo, s0
	s_cbranch_execz .LBB3_38
; %bb.37:
	v_mad_u64_u32 v[1:2], null, s8, 5, v[0:1]
	v_mov_b32_e32 v2, 0
	s_delay_alu instid0(VALU_DEP_1) | instskip(NEXT) | instid1(VALU_DEP_1)
	v_lshlrev_b64 v[0:1], 3, v[1:2]
	v_add_co_u32 v0, vcc_lo, s2, v0
	s_delay_alu instid0(VALU_DEP_2)
	v_add_co_ci_u32_e32 v1, vcc_lo, s3, v1, vcc_lo
	global_store_b64 v[0:1], v[3:4], off
                                        ; implicit-def: $vgpr0
                                        ; implicit-def: $vgpr1_vgpr2
                                        ; implicit-def: $vgpr3_vgpr4
.LBB3_38:
	s_and_not1_saveexec_b32 s0, s0
	s_cbranch_execz .LBB3_34
; %bb.39:
	v_mad_u64_u32 v[5:6], null, s8, 5, v[0:1]
	v_mov_b32_e32 v6, 0
	s_delay_alu instid0(VALU_DEP_1) | instskip(NEXT) | instid1(VALU_DEP_1)
	v_lshlrev_b64 v[5:6], 3, v[5:6]
	v_add_co_u32 v5, vcc_lo, s2, v5
	s_delay_alu instid0(VALU_DEP_2)
	v_add_co_ci_u32_e32 v6, vcc_lo, s3, v6, vcc_lo
	global_load_b64 v[7:8], v[5:6], off
	s_waitcnt vmcnt(0)
	v_fma_f64 v[0:1], v[1:2], v[7:8], v[3:4]
	global_store_b64 v[5:6], v[0:1], off
	s_nop 0
	s_sendmsg sendmsg(MSG_DEALLOC_VGPRS)
	s_endpgm
	.section	.rodata,"a",@progbits
	.p2align	6, 0x0
	.amdhsa_kernel _ZN9rocsparseL18bsrxmvn_5x5_kernelILj50EdiidddEEvT2_20rocsparse_direction_NS_24const_host_device_scalarIT0_EES1_PKS1_PKT1_SA_S7_PKT3_PKT4_S5_PT5_21rocsparse_index_base_b
		.amdhsa_group_segment_fixed_size 400
		.amdhsa_private_segment_fixed_size 0
		.amdhsa_kernarg_size 96
		.amdhsa_user_sgpr_count 15
		.amdhsa_user_sgpr_dispatch_ptr 0
		.amdhsa_user_sgpr_queue_ptr 0
		.amdhsa_user_sgpr_kernarg_segment_ptr 1
		.amdhsa_user_sgpr_dispatch_id 0
		.amdhsa_user_sgpr_private_segment_size 0
		.amdhsa_wavefront_size32 1
		.amdhsa_uses_dynamic_stack 0
		.amdhsa_enable_private_segment 0
		.amdhsa_system_sgpr_workgroup_id_x 1
		.amdhsa_system_sgpr_workgroup_id_y 0
		.amdhsa_system_sgpr_workgroup_id_z 0
		.amdhsa_system_sgpr_workgroup_info 0
		.amdhsa_system_vgpr_workitem_id 0
		.amdhsa_next_free_vgpr 16
		.amdhsa_next_free_sgpr 16
		.amdhsa_reserve_vcc 1
		.amdhsa_float_round_mode_32 0
		.amdhsa_float_round_mode_16_64 0
		.amdhsa_float_denorm_mode_32 3
		.amdhsa_float_denorm_mode_16_64 3
		.amdhsa_dx10_clamp 1
		.amdhsa_ieee_mode 1
		.amdhsa_fp16_overflow 0
		.amdhsa_workgroup_processor_mode 1
		.amdhsa_memory_ordered 1
		.amdhsa_forward_progress 0
		.amdhsa_shared_vgpr_count 0
		.amdhsa_exception_fp_ieee_invalid_op 0
		.amdhsa_exception_fp_denorm_src 0
		.amdhsa_exception_fp_ieee_div_zero 0
		.amdhsa_exception_fp_ieee_overflow 0
		.amdhsa_exception_fp_ieee_underflow 0
		.amdhsa_exception_fp_ieee_inexact 0
		.amdhsa_exception_int_div_zero 0
	.end_amdhsa_kernel
	.section	.text._ZN9rocsparseL18bsrxmvn_5x5_kernelILj50EdiidddEEvT2_20rocsparse_direction_NS_24const_host_device_scalarIT0_EES1_PKS1_PKT1_SA_S7_PKT3_PKT4_S5_PT5_21rocsparse_index_base_b,"axG",@progbits,_ZN9rocsparseL18bsrxmvn_5x5_kernelILj50EdiidddEEvT2_20rocsparse_direction_NS_24const_host_device_scalarIT0_EES1_PKS1_PKT1_SA_S7_PKT3_PKT4_S5_PT5_21rocsparse_index_base_b,comdat
.Lfunc_end3:
	.size	_ZN9rocsparseL18bsrxmvn_5x5_kernelILj50EdiidddEEvT2_20rocsparse_direction_NS_24const_host_device_scalarIT0_EES1_PKS1_PKT1_SA_S7_PKT3_PKT4_S5_PT5_21rocsparse_index_base_b, .Lfunc_end3-_ZN9rocsparseL18bsrxmvn_5x5_kernelILj50EdiidddEEvT2_20rocsparse_direction_NS_24const_host_device_scalarIT0_EES1_PKS1_PKT1_SA_S7_PKT3_PKT4_S5_PT5_21rocsparse_index_base_b
                                        ; -- End function
	.section	.AMDGPU.csdata,"",@progbits
; Kernel info:
; codeLenInByte = 1440
; NumSgprs: 18
; NumVgprs: 16
; ScratchSize: 0
; MemoryBound: 0
; FloatMode: 240
; IeeeMode: 1
; LDSByteSize: 400 bytes/workgroup (compile time only)
; SGPRBlocks: 2
; VGPRBlocks: 1
; NumSGPRsForWavesPerEU: 18
; NumVGPRsForWavesPerEU: 16
; Occupancy: 16
; WaveLimiterHint : 1
; COMPUTE_PGM_RSRC2:SCRATCH_EN: 0
; COMPUTE_PGM_RSRC2:USER_SGPR: 15
; COMPUTE_PGM_RSRC2:TRAP_HANDLER: 0
; COMPUTE_PGM_RSRC2:TGID_X_EN: 1
; COMPUTE_PGM_RSRC2:TGID_Y_EN: 0
; COMPUTE_PGM_RSRC2:TGID_Z_EN: 0
; COMPUTE_PGM_RSRC2:TIDIG_COMP_CNT: 0
	.section	.text._ZN9rocsparseL18bsrxmvn_5x5_kernelILj50E21rocsparse_complex_numIfEiiS2_S2_S2_EEvT2_20rocsparse_direction_NS_24const_host_device_scalarIT0_EES3_PKS3_PKT1_SC_S9_PKT3_PKT4_S7_PT5_21rocsparse_index_base_b,"axG",@progbits,_ZN9rocsparseL18bsrxmvn_5x5_kernelILj50E21rocsparse_complex_numIfEiiS2_S2_S2_EEvT2_20rocsparse_direction_NS_24const_host_device_scalarIT0_EES3_PKS3_PKT1_SC_S9_PKT3_PKT4_S7_PT5_21rocsparse_index_base_b,comdat
	.globl	_ZN9rocsparseL18bsrxmvn_5x5_kernelILj50E21rocsparse_complex_numIfEiiS2_S2_S2_EEvT2_20rocsparse_direction_NS_24const_host_device_scalarIT0_EES3_PKS3_PKT1_SC_S9_PKT3_PKT4_S7_PT5_21rocsparse_index_base_b ; -- Begin function _ZN9rocsparseL18bsrxmvn_5x5_kernelILj50E21rocsparse_complex_numIfEiiS2_S2_S2_EEvT2_20rocsparse_direction_NS_24const_host_device_scalarIT0_EES3_PKS3_PKT1_SC_S9_PKT3_PKT4_S7_PT5_21rocsparse_index_base_b
	.p2align	8
	.type	_ZN9rocsparseL18bsrxmvn_5x5_kernelILj50E21rocsparse_complex_numIfEiiS2_S2_S2_EEvT2_20rocsparse_direction_NS_24const_host_device_scalarIT0_EES3_PKS3_PKT1_SC_S9_PKT3_PKT4_S7_PT5_21rocsparse_index_base_b,@function
_ZN9rocsparseL18bsrxmvn_5x5_kernelILj50E21rocsparse_complex_numIfEiiS2_S2_S2_EEvT2_20rocsparse_direction_NS_24const_host_device_scalarIT0_EES3_PKS3_PKT1_SC_S9_PKT3_PKT4_S7_PT5_21rocsparse_index_base_b: ; @_ZN9rocsparseL18bsrxmvn_5x5_kernelILj50E21rocsparse_complex_numIfEiiS2_S2_S2_EEvT2_20rocsparse_direction_NS_24const_host_device_scalarIT0_EES3_PKS3_PKT1_SC_S9_PKT3_PKT4_S7_PT5_21rocsparse_index_base_b
; %bb.0:
	s_clause 0x2
	s_load_b64 s[10:11], s[0:1], 0x58
	s_load_b64 s[4:5], s[0:1], 0x8
	;; [unrolled: 1-line block ×3, first 2 shown]
	s_mov_b32 s8, s15
	s_waitcnt lgkmcnt(0)
	s_bitcmp1_b32 s11, 0
	v_mov_b32_e32 v10, s4
	s_cselect_b32 s6, -1, 0
	s_delay_alu instid0(SALU_CYCLE_1)
	s_and_b32 vcc_lo, exec_lo, s6
	s_xor_b32 s6, s6, -1
	s_cbranch_vccz .LBB4_15
; %bb.1:
	v_cndmask_b32_e64 v1, 0, 1, s6
	v_mov_b32_e32 v11, s5
	s_and_not1_b32 vcc_lo, exec_lo, s6
	s_cbranch_vccz .LBB4_16
.LBB4_2:
	s_delay_alu instid0(VALU_DEP_2)
	v_cmp_ne_u32_e32 vcc_lo, 1, v1
	v_mov_b32_e32 v8, s2
	s_cbranch_vccz .LBB4_17
.LBB4_3:
	v_cmp_ne_u32_e32 vcc_lo, 1, v1
	v_mov_b32_e32 v9, s3
	s_cbranch_vccnz .LBB4_5
.LBB4_4:
	v_dual_mov_b32 v1, s2 :: v_dual_mov_b32 v2, s3
	flat_load_b32 v9, v[1:2] offset:4
.LBB4_5:
	s_waitcnt vmcnt(0) lgkmcnt(0)
	v_cmp_eq_f32_e32 vcc_lo, 0, v10
	v_cmp_eq_f32_e64 s2, 0, v11
	s_delay_alu instid0(VALU_DEP_1)
	s_and_b32 s4, vcc_lo, s2
	s_mov_b32 s2, -1
	s_and_saveexec_b32 s3, s4
; %bb.6:
	v_cmp_neq_f32_e32 vcc_lo, 1.0, v8
	v_cmp_neq_f32_e64 s2, 0, v9
	s_delay_alu instid0(VALU_DEP_1) | instskip(NEXT) | instid1(SALU_CYCLE_1)
	s_or_b32 s2, vcc_lo, s2
	s_or_not1_b32 s2, s2, exec_lo
; %bb.7:
	s_or_b32 exec_lo, exec_lo, s3
	s_and_saveexec_b32 s3, s2
	s_cbranch_execz .LBB4_40
; %bb.8:
	s_clause 0x1
	s_load_b128 s[4:7], s[0:1], 0x18
	s_load_b64 s[2:3], s[0:1], 0x28
	s_waitcnt lgkmcnt(0)
	s_cmp_eq_u64 s[4:5], 0
	s_cbranch_scc1 .LBB4_10
; %bb.9:
	s_ashr_i32 s9, s8, 31
	s_delay_alu instid0(SALU_CYCLE_1) | instskip(NEXT) | instid1(SALU_CYCLE_1)
	s_lshl_b64 s[8:9], s[8:9], 2
	s_add_u32 s4, s4, s8
	s_addc_u32 s5, s5, s9
	s_load_b32 s4, s[4:5], 0x0
	s_waitcnt lgkmcnt(0)
	s_sub_i32 s8, s4, s10
.LBB4_10:
	s_load_b32 s4, s[0:1], 0x4
	v_mul_u32_u24_e32 v1, 0x3334, v0
	v_mov_b32_e32 v2, 0
	s_delay_alu instid0(VALU_DEP_2) | instskip(NEXT) | instid1(VALU_DEP_1)
	v_lshrrev_b32_e32 v3, 16, v1
	v_mul_lo_u16 v1, v3, 5
	s_delay_alu instid0(VALU_DEP_1)
	v_sub_nc_u16 v12, v0, v1
	v_mov_b32_e32 v1, 0
	s_waitcnt lgkmcnt(0)
	s_cmp_eq_u32 s4, 1
	s_cselect_b32 vcc_lo, -1, 0
	s_cmp_lg_u32 s4, 1
	s_cselect_b32 s11, -1, 0
	s_ashr_i32 s9, s8, 31
	s_delay_alu instid0(SALU_CYCLE_1) | instskip(NEXT) | instid1(SALU_CYCLE_1)
	s_lshl_b64 s[4:5], s[8:9], 2
	s_add_u32 s6, s6, s4
	s_addc_u32 s7, s7, s5
	s_add_u32 s9, s6, 4
	s_addc_u32 s12, s7, 0
	;; [unrolled: 2-line block ×3, first 2 shown]
	s_cmp_eq_u64 s[2:3], 0
	s_cselect_b32 s3, s12, s5
	s_cselect_b32 s2, s9, s4
	s_load_b32 s12, s[6:7], 0x0
	s_load_b32 s9, s[2:3], 0x0
	s_load_b64 s[2:3], s[0:1], 0x50
	s_waitcnt lgkmcnt(0)
	s_cmp_ge_i32 s12, s9
	s_cbranch_scc1 .LBB4_18
; %bb.11:
	v_mul_lo_u16 v1, v3, 52
	s_clause 0x1
	s_load_b128 s[4:7], s[0:1], 0x30
	s_load_b64 s[0:1], s[0:1], 0x40
	v_and_b32_e32 v5, 0xffff, v0
	s_mul_i32 s13, s10, 25
	s_sub_i32 s9, s9, s10
	v_lshrrev_b16 v1, 8, v1
	s_delay_alu instid0(VALU_DEP_1) | instskip(SKIP_2) | instid1(VALU_DEP_2)
	v_mul_lo_u16 v4, v1, 5
	v_mad_u64_u32 v[1:2], null, s12, 25, v[0:1]
	s_sub_i32 s12, s12, s10
	v_sub_nc_u16 v2, v3, v4
	v_mov_b32_e32 v4, 0
	s_delay_alu instid0(VALU_DEP_3) | instskip(NEXT) | instid1(VALU_DEP_3)
	v_subrev_nc_u32_e32 v3, s13, v1
	v_dual_mov_b32 v2, 0 :: v_dual_and_b32 v7, 0xff, v2
	v_and_b32_e32 v6, 0xffff, v12
	v_mul_u32_u24_e32 v5, 0xa3e, v5
	s_delay_alu instid0(VALU_DEP_3) | instskip(NEXT) | instid1(VALU_DEP_2)
	v_mov_b32_e32 v1, v2
	v_lshrrev_b32_e32 v13, 16, v5
	s_delay_alu instid0(VALU_DEP_4)
	v_cndmask_b32_e32 v5, v6, v7, vcc_lo
	s_set_inst_prefetch_distance 0x1
	s_branch .LBB4_13
	.p2align	6
.LBB4_12:                               ;   in Loop: Header=BB4_13 Depth=1
	s_or_b32 exec_lo, exec_lo, s13
	v_add_nc_u32_e32 v3, 50, v3
	s_add_i32 s12, s12, 2
	s_delay_alu instid0(SALU_CYCLE_1)
	s_cmp_ge_i32 s12, s9
	s_cbranch_scc1 .LBB4_18
.LBB4_13:                               ; =>This Inner Loop Header: Depth=1
	s_delay_alu instid0(VALU_DEP_2) | instskip(SKIP_1) | instid1(VALU_DEP_1)
	v_add_nc_u32_e32 v6, s12, v13
	s_mov_b32 s13, exec_lo
	v_cmpx_gt_i32_e64 s9, v6
	s_cbranch_execz .LBB4_12
; %bb.14:                               ;   in Loop: Header=BB4_13 Depth=1
	v_ashrrev_i32_e32 v7, 31, v6
	s_delay_alu instid0(VALU_DEP_1) | instskip(SKIP_1) | instid1(VALU_DEP_1)
	v_lshlrev_b64 v[6:7], 2, v[6:7]
	s_waitcnt lgkmcnt(0)
	v_add_co_u32 v6, vcc_lo, s4, v6
	s_delay_alu instid0(VALU_DEP_2) | instskip(SKIP_3) | instid1(VALU_DEP_1)
	v_add_co_ci_u32_e32 v7, vcc_lo, s5, v7, vcc_lo
	global_load_b32 v6, v[6:7], off
	s_waitcnt vmcnt(0)
	v_subrev_nc_u32_e32 v14, s10, v6
	v_mad_u64_u32 v[6:7], null, v14, 5, v[5:6]
	v_lshlrev_b64 v[14:15], 3, v[3:4]
	s_delay_alu instid0(VALU_DEP_1) | instskip(NEXT) | instid1(VALU_DEP_3)
	v_add_co_u32 v14, vcc_lo, s6, v14
	v_ashrrev_i32_e32 v7, 31, v6
	s_delay_alu instid0(VALU_DEP_3) | instskip(NEXT) | instid1(VALU_DEP_2)
	v_add_co_ci_u32_e32 v15, vcc_lo, s7, v15, vcc_lo
	v_lshlrev_b64 v[6:7], 3, v[6:7]
	s_delay_alu instid0(VALU_DEP_1) | instskip(NEXT) | instid1(VALU_DEP_2)
	v_add_co_u32 v6, vcc_lo, s0, v6
	v_add_co_ci_u32_e32 v7, vcc_lo, s1, v7, vcc_lo
	global_load_b64 v[14:15], v[14:15], off
	global_load_b64 v[6:7], v[6:7], off
	s_waitcnt vmcnt(0)
	v_fmac_f32_e32 v1, v14, v6
	v_fmac_f32_e32 v2, v15, v6
	s_delay_alu instid0(VALU_DEP_2) | instskip(NEXT) | instid1(VALU_DEP_2)
	v_fma_f32 v1, -v15, v7, v1
	v_fmac_f32_e32 v2, v14, v7
	s_branch .LBB4_12
.LBB4_15:
	v_dual_mov_b32 v1, s4 :: v_dual_mov_b32 v2, s5
	flat_load_b32 v10, v[1:2]
	v_cndmask_b32_e64 v1, 0, 1, s6
	v_mov_b32_e32 v11, s5
	s_and_not1_b32 vcc_lo, exec_lo, s6
	s_cbranch_vccnz .LBB4_2
.LBB4_16:
	v_dual_mov_b32 v2, s4 :: v_dual_mov_b32 v3, s5
	flat_load_b32 v11, v[2:3] offset:4
	v_cmp_ne_u32_e32 vcc_lo, 1, v1
	v_mov_b32_e32 v8, s2
	s_cbranch_vccnz .LBB4_3
.LBB4_17:
	v_dual_mov_b32 v2, s2 :: v_dual_mov_b32 v3, s3
	flat_load_b32 v8, v[2:3]
	v_cmp_ne_u32_e32 vcc_lo, 1, v1
	v_mov_b32_e32 v9, s3
	s_cbranch_vccz .LBB4_4
	s_branch .LBB4_5
.LBB4_18:
	s_set_inst_prefetch_distance 0x2
	v_lshlrev_b32_e32 v3, 3, v0
	s_and_b32 vcc_lo, exec_lo, s11
	ds_store_b64 v3, v[1:2]
	s_waitcnt lgkmcnt(0)
	buffer_gl0_inv
	s_cbranch_vccz .LBB4_28
; %bb.19:
	s_mov_b32 s0, exec_lo
	v_cmpx_gt_u32_e32 25, v0
	s_cbranch_execz .LBB4_21
; %bb.20:
	ds_load_2addr_b64 v[4:7], v3 offset1:25
	s_waitcnt lgkmcnt(0)
	v_dual_add_f32 v4, v6, v4 :: v_dual_add_f32 v5, v7, v5
	ds_store_b64 v3, v[4:5]
.LBB4_21:
	s_or_b32 exec_lo, exec_lo, s0
	s_delay_alu instid0(SALU_CYCLE_1)
	s_mov_b32 s0, exec_lo
	s_waitcnt lgkmcnt(0)
	buffer_gl0_inv
	v_cmpx_eq_u16_e32 0, v12
	s_cbranch_execz .LBB4_23
; %bb.22:
	ds_load_2addr_b64 v[4:7], v3 offset1:4
	s_waitcnt lgkmcnt(0)
	v_dual_add_f32 v4, v6, v4 :: v_dual_add_f32 v5, v7, v5
	ds_store_b64 v3, v[4:5]
.LBB4_23:
	s_or_b32 exec_lo, exec_lo, s0
	s_delay_alu instid0(SALU_CYCLE_1)
	s_mov_b32 s0, exec_lo
	s_waitcnt lgkmcnt(0)
	buffer_gl0_inv
	v_cmpx_gt_u16_e32 2, v12
	s_cbranch_execz .LBB4_25
; %bb.24:
	ds_load_2addr_b64 v[4:7], v3 offset1:2
	s_waitcnt lgkmcnt(0)
	v_dual_add_f32 v4, v6, v4 :: v_dual_add_f32 v5, v7, v5
	ds_store_b64 v3, v[4:5]
.LBB4_25:
	s_or_b32 exec_lo, exec_lo, s0
	s_mov_b32 s0, 0
	s_mov_b32 s1, 0
	s_mov_b32 s4, exec_lo
	s_waitcnt lgkmcnt(0)
	buffer_gl0_inv
                                        ; implicit-def: $vgpr5
                                        ; implicit-def: $vgpr4
	v_cmpx_gt_u32_e32 5, v0
	s_xor_b32 s4, exec_lo, s4
; %bb.26:
	v_lshl_add_u32 v5, v0, 5, v3
	v_mad_u32_u24 v4, v0, 5, 1
	s_mov_b32 s1, exec_lo
; %bb.27:
	s_or_b32 exec_lo, exec_lo, s4
	s_delay_alu instid0(SALU_CYCLE_1)
	s_and_b32 vcc_lo, exec_lo, s0
	s_cbranch_vccnz .LBB4_29
	s_branch .LBB4_38
.LBB4_28:
	s_mov_b32 s1, 0
                                        ; implicit-def: $vgpr5
                                        ; implicit-def: $vgpr4
	s_cbranch_execz .LBB4_38
.LBB4_29:
	v_cmp_gt_u32_e32 vcc_lo, 10, v0
	s_and_saveexec_b32 s0, vcc_lo
	s_cbranch_execz .LBB4_31
; %bb.30:
	ds_load_2addr_b64 v[4:7], v3 offset1:40
	s_waitcnt lgkmcnt(0)
	v_dual_add_f32 v4, v6, v4 :: v_dual_add_f32 v5, v7, v5
	ds_store_b64 v3, v[4:5]
.LBB4_31:
	s_or_b32 exec_lo, exec_lo, s0
	s_delay_alu instid0(SALU_CYCLE_1)
	s_mov_b32 s4, exec_lo
	s_waitcnt lgkmcnt(0)
	buffer_gl0_inv
	v_cmpx_gt_u32_e32 20, v0
	s_cbranch_execz .LBB4_33
; %bb.32:
	ds_load_2addr_b64 v[4:7], v3 offset1:20
	s_waitcnt lgkmcnt(0)
	v_dual_add_f32 v4, v6, v4 :: v_dual_add_f32 v5, v7, v5
	ds_store_b64 v3, v[4:5]
.LBB4_33:
	s_or_b32 exec_lo, exec_lo, s4
	s_waitcnt lgkmcnt(0)
	buffer_gl0_inv
	s_and_saveexec_b32 s0, vcc_lo
	s_cbranch_execz .LBB4_35
; %bb.34:
	ds_load_2addr_b64 v[4:7], v3 offset1:10
	s_waitcnt lgkmcnt(0)
	v_dual_add_f32 v4, v6, v4 :: v_dual_add_f32 v5, v7, v5
	ds_store_b64 v3, v[4:5]
.LBB4_35:
	s_or_b32 exec_lo, exec_lo, s0
	s_delay_alu instid0(SALU_CYCLE_1)
	s_mov_b32 s0, exec_lo
	s_waitcnt lgkmcnt(0)
	buffer_gl0_inv
                                        ; implicit-def: $vgpr4
	v_cmpx_gt_u32_e32 5, v0
; %bb.36:
	v_add_nc_u32_e32 v4, 5, v0
	s_or_b32 s1, s1, exec_lo
                                        ; implicit-def: $vgpr2
; %bb.37:
	s_or_b32 exec_lo, exec_lo, s0
	v_mov_b32_e32 v5, v3
.LBB4_38:
	s_and_saveexec_b32 s0, s1
	s_cbranch_execnz .LBB4_41
; %bb.39:
	s_or_b32 exec_lo, exec_lo, s0
	v_cmp_gt_u32_e32 vcc_lo, 5, v0
	s_and_b32 exec_lo, exec_lo, vcc_lo
	s_cbranch_execnz .LBB4_42
.LBB4_40:
	s_nop 0
	s_sendmsg sendmsg(MSG_DEALLOC_VGPRS)
	s_endpgm
.LBB4_41:
	v_lshlrev_b32_e32 v3, 3, v4
	ds_load_2addr_b32 v[1:2], v5 offset1:1
	ds_load_b64 v[3:4], v3
	s_waitcnt lgkmcnt(0)
	v_dual_add_f32 v2, v4, v2 :: v_dual_add_f32 v1, v3, v1
	s_or_b32 exec_lo, exec_lo, s0
	v_cmp_gt_u32_e32 vcc_lo, 5, v0
	s_and_b32 exec_lo, exec_lo, vcc_lo
	s_cbranch_execz .LBB4_40
.LBB4_42:
	v_mul_f32_e64 v3, v2, -v11
	v_mul_f32_e32 v4, v2, v10
	v_cmp_eq_f32_e32 vcc_lo, 0, v8
	v_cmp_eq_f32_e64 s0, 0, v9
	s_delay_alu instid0(VALU_DEP_4) | instskip(NEXT) | instid1(VALU_DEP_4)
	v_fmac_f32_e32 v3, v10, v1
	v_fmac_f32_e32 v4, v11, v1
	s_delay_alu instid0(VALU_DEP_3) | instskip(NEXT) | instid1(SALU_CYCLE_1)
	s_and_b32 s0, vcc_lo, s0
	s_and_saveexec_b32 s1, s0
	s_delay_alu instid0(SALU_CYCLE_1)
	s_xor_b32 s0, exec_lo, s1
	s_cbranch_execz .LBB4_44
; %bb.43:
	v_mad_u64_u32 v[1:2], null, s8, 5, v[0:1]
	v_mov_b32_e32 v2, 0
                                        ; implicit-def: $vgpr8
                                        ; implicit-def: $vgpr9
	s_delay_alu instid0(VALU_DEP_1) | instskip(NEXT) | instid1(VALU_DEP_1)
	v_lshlrev_b64 v[0:1], 3, v[1:2]
	v_add_co_u32 v0, vcc_lo, s2, v0
	s_delay_alu instid0(VALU_DEP_2)
	v_add_co_ci_u32_e32 v1, vcc_lo, s3, v1, vcc_lo
	global_store_b64 v[0:1], v[3:4], off
                                        ; implicit-def: $vgpr0
                                        ; implicit-def: $vgpr3
.LBB4_44:
	s_and_not1_saveexec_b32 s0, s0
	s_cbranch_execz .LBB4_40
; %bb.45:
	v_mad_u64_u32 v[1:2], null, s8, 5, v[0:1]
	v_mov_b32_e32 v2, 0
	s_delay_alu instid0(VALU_DEP_1) | instskip(NEXT) | instid1(VALU_DEP_1)
	v_lshlrev_b64 v[0:1], 3, v[1:2]
	v_add_co_u32 v0, vcc_lo, s2, v0
	s_delay_alu instid0(VALU_DEP_2) | instskip(SKIP_4) | instid1(VALU_DEP_2)
	v_add_co_ci_u32_e32 v1, vcc_lo, s3, v1, vcc_lo
	global_load_b64 v[5:6], v[0:1], off
	s_waitcnt vmcnt(0)
	v_fmac_f32_e32 v3, v8, v5
	v_fmac_f32_e32 v4, v9, v5
	v_fma_f32 v3, -v9, v6, v3
	s_delay_alu instid0(VALU_DEP_2)
	v_fmac_f32_e32 v4, v8, v6
	global_store_b64 v[0:1], v[3:4], off
	s_nop 0
	s_sendmsg sendmsg(MSG_DEALLOC_VGPRS)
	s_endpgm
	.section	.rodata,"a",@progbits
	.p2align	6, 0x0
	.amdhsa_kernel _ZN9rocsparseL18bsrxmvn_5x5_kernelILj50E21rocsparse_complex_numIfEiiS2_S2_S2_EEvT2_20rocsparse_direction_NS_24const_host_device_scalarIT0_EES3_PKS3_PKT1_SC_S9_PKT3_PKT4_S7_PT5_21rocsparse_index_base_b
		.amdhsa_group_segment_fixed_size 400
		.amdhsa_private_segment_fixed_size 0
		.amdhsa_kernarg_size 96
		.amdhsa_user_sgpr_count 15
		.amdhsa_user_sgpr_dispatch_ptr 0
		.amdhsa_user_sgpr_queue_ptr 0
		.amdhsa_user_sgpr_kernarg_segment_ptr 1
		.amdhsa_user_sgpr_dispatch_id 0
		.amdhsa_user_sgpr_private_segment_size 0
		.amdhsa_wavefront_size32 1
		.amdhsa_uses_dynamic_stack 0
		.amdhsa_enable_private_segment 0
		.amdhsa_system_sgpr_workgroup_id_x 1
		.amdhsa_system_sgpr_workgroup_id_y 0
		.amdhsa_system_sgpr_workgroup_id_z 0
		.amdhsa_system_sgpr_workgroup_info 0
		.amdhsa_system_vgpr_workitem_id 0
		.amdhsa_next_free_vgpr 16
		.amdhsa_next_free_sgpr 16
		.amdhsa_reserve_vcc 1
		.amdhsa_float_round_mode_32 0
		.amdhsa_float_round_mode_16_64 0
		.amdhsa_float_denorm_mode_32 3
		.amdhsa_float_denorm_mode_16_64 3
		.amdhsa_dx10_clamp 1
		.amdhsa_ieee_mode 1
		.amdhsa_fp16_overflow 0
		.amdhsa_workgroup_processor_mode 1
		.amdhsa_memory_ordered 1
		.amdhsa_forward_progress 0
		.amdhsa_shared_vgpr_count 0
		.amdhsa_exception_fp_ieee_invalid_op 0
		.amdhsa_exception_fp_denorm_src 0
		.amdhsa_exception_fp_ieee_div_zero 0
		.amdhsa_exception_fp_ieee_overflow 0
		.amdhsa_exception_fp_ieee_underflow 0
		.amdhsa_exception_fp_ieee_inexact 0
		.amdhsa_exception_int_div_zero 0
	.end_amdhsa_kernel
	.section	.text._ZN9rocsparseL18bsrxmvn_5x5_kernelILj50E21rocsparse_complex_numIfEiiS2_S2_S2_EEvT2_20rocsparse_direction_NS_24const_host_device_scalarIT0_EES3_PKS3_PKT1_SC_S9_PKT3_PKT4_S7_PT5_21rocsparse_index_base_b,"axG",@progbits,_ZN9rocsparseL18bsrxmvn_5x5_kernelILj50E21rocsparse_complex_numIfEiiS2_S2_S2_EEvT2_20rocsparse_direction_NS_24const_host_device_scalarIT0_EES3_PKS3_PKT1_SC_S9_PKT3_PKT4_S7_PT5_21rocsparse_index_base_b,comdat
.Lfunc_end4:
	.size	_ZN9rocsparseL18bsrxmvn_5x5_kernelILj50E21rocsparse_complex_numIfEiiS2_S2_S2_EEvT2_20rocsparse_direction_NS_24const_host_device_scalarIT0_EES3_PKS3_PKT1_SC_S9_PKT3_PKT4_S7_PT5_21rocsparse_index_base_b, .Lfunc_end4-_ZN9rocsparseL18bsrxmvn_5x5_kernelILj50E21rocsparse_complex_numIfEiiS2_S2_S2_EEvT2_20rocsparse_direction_NS_24const_host_device_scalarIT0_EES3_PKS3_PKT1_SC_S9_PKT3_PKT4_S7_PT5_21rocsparse_index_base_b
                                        ; -- End function
	.section	.AMDGPU.csdata,"",@progbits
; Kernel info:
; codeLenInByte = 1652
; NumSgprs: 18
; NumVgprs: 16
; ScratchSize: 0
; MemoryBound: 0
; FloatMode: 240
; IeeeMode: 1
; LDSByteSize: 400 bytes/workgroup (compile time only)
; SGPRBlocks: 2
; VGPRBlocks: 1
; NumSGPRsForWavesPerEU: 18
; NumVGPRsForWavesPerEU: 16
; Occupancy: 16
; WaveLimiterHint : 1
; COMPUTE_PGM_RSRC2:SCRATCH_EN: 0
; COMPUTE_PGM_RSRC2:USER_SGPR: 15
; COMPUTE_PGM_RSRC2:TRAP_HANDLER: 0
; COMPUTE_PGM_RSRC2:TGID_X_EN: 1
; COMPUTE_PGM_RSRC2:TGID_Y_EN: 0
; COMPUTE_PGM_RSRC2:TGID_Z_EN: 0
; COMPUTE_PGM_RSRC2:TIDIG_COMP_CNT: 0
	.section	.text._ZN9rocsparseL18bsrxmvn_5x5_kernelILj50E21rocsparse_complex_numIdEiiS2_S2_S2_EEvT2_20rocsparse_direction_NS_24const_host_device_scalarIT0_EES3_PKS3_PKT1_SC_S9_PKT3_PKT4_S7_PT5_21rocsparse_index_base_b,"axG",@progbits,_ZN9rocsparseL18bsrxmvn_5x5_kernelILj50E21rocsparse_complex_numIdEiiS2_S2_S2_EEvT2_20rocsparse_direction_NS_24const_host_device_scalarIT0_EES3_PKS3_PKT1_SC_S9_PKT3_PKT4_S7_PT5_21rocsparse_index_base_b,comdat
	.globl	_ZN9rocsparseL18bsrxmvn_5x5_kernelILj50E21rocsparse_complex_numIdEiiS2_S2_S2_EEvT2_20rocsparse_direction_NS_24const_host_device_scalarIT0_EES3_PKS3_PKT1_SC_S9_PKT3_PKT4_S7_PT5_21rocsparse_index_base_b ; -- Begin function _ZN9rocsparseL18bsrxmvn_5x5_kernelILj50E21rocsparse_complex_numIdEiiS2_S2_S2_EEvT2_20rocsparse_direction_NS_24const_host_device_scalarIT0_EES3_PKS3_PKT1_SC_S9_PKT3_PKT4_S7_PT5_21rocsparse_index_base_b
	.p2align	8
	.type	_ZN9rocsparseL18bsrxmvn_5x5_kernelILj50E21rocsparse_complex_numIdEiiS2_S2_S2_EEvT2_20rocsparse_direction_NS_24const_host_device_scalarIT0_EES3_PKS3_PKT1_SC_S9_PKT3_PKT4_S7_PT5_21rocsparse_index_base_b,@function
_ZN9rocsparseL18bsrxmvn_5x5_kernelILj50E21rocsparse_complex_numIdEiiS2_S2_S2_EEvT2_20rocsparse_direction_NS_24const_host_device_scalarIT0_EES3_PKS3_PKT1_SC_S9_PKT3_PKT4_S7_PT5_21rocsparse_index_base_b: ; @_ZN9rocsparseL18bsrxmvn_5x5_kernelILj50E21rocsparse_complex_numIdEiiS2_S2_S2_EEvT2_20rocsparse_direction_NS_24const_host_device_scalarIT0_EES3_PKS3_PKT1_SC_S9_PKT3_PKT4_S7_PT5_21rocsparse_index_base_b
; %bb.0:
	s_mov_b32 s12, s15
	s_load_b64 s[14:15], s[2:3], 0x68
	s_load_b64 s[16:17], s[0:1], 0x4
	s_load_b128 s[8:11], s[2:3], 0x8
	v_bfe_u32 v1, v0, 10, 10
	s_mov_b64 s[0:1], src_shared_base
	s_load_b128 s[4:7], s[2:3], 0x50
	v_and_b32_e32 v4, 0x3ff, v0
	v_bfe_u32 v0, v0, 20, 10
	s_waitcnt lgkmcnt(0)
	s_bitcmp1_b32 s15, 0
	v_mul_u32_u24_e32 v1, s17, v1
	s_cselect_b32 s0, -1, 0
	v_mov_b32_e32 v12, s11
	s_and_b32 vcc_lo, s0, exec_lo
	s_cselect_b32 s13, s1, s9
	s_lshr_b32 s15, s16, 16
	v_dual_mov_b32 v2, s4 :: v_dual_mov_b32 v3, s5
	s_mul_i32 s15, s15, s17
	v_dual_mov_b32 v6, s13 :: v_dual_mov_b32 v11, s10
	v_mad_u32_u24 v1, s15, v4, v1
	s_xor_b32 s10, s0, -1
	s_delay_alu instid0(VALU_DEP_1) | instskip(SKIP_1) | instid1(VALU_DEP_2)
	v_add_lshl_u32 v7, v1, v0, 3
	v_dual_mov_b32 v0, s8 :: v_dual_mov_b32 v1, s9
	v_add_nc_u32_e32 v5, 0x4b0, v7
	ds_store_2addr_b64 v7, v[2:3], v[0:1] offset0:100 offset1:150
	v_add_nc_u32_e32 v0, 0x320, v7
	v_cndmask_b32_e64 v5, s8, v5, s0
	flat_load_b64 v[9:10], v[5:6]
	s_cbranch_vccnz .LBB5_2
; %bb.1:
	v_dual_mov_b32 v1, s8 :: v_dual_mov_b32 v2, s9
	flat_load_b64 v[11:12], v[1:2] offset:8
.LBB5_2:
	s_and_b32 s8, s0, exec_lo
	s_cselect_b32 s1, s1, s5
	v_cndmask_b32_e64 v0, s4, v0, s0
	v_dual_mov_b32 v1, s1 :: v_dual_mov_b32 v8, s7
	v_mov_b32_e32 v7, s6
	s_and_not1_b32 vcc_lo, exec_lo, s10
	flat_load_b64 v[5:6], v[0:1]
	s_cbranch_vccnz .LBB5_4
; %bb.3:
	v_dual_mov_b32 v0, s4 :: v_dual_mov_b32 v1, s5
	flat_load_b64 v[7:8], v[0:1] offset:8
.LBB5_4:
	s_waitcnt vmcnt(1) lgkmcnt(1)
	v_cmp_eq_f64_e32 vcc_lo, 0, v[9:10]
	v_cmp_eq_f64_e64 s0, 0, v[11:12]
	s_delay_alu instid0(VALU_DEP_1)
	s_and_b32 s4, vcc_lo, s0
	s_mov_b32 s0, -1
	s_and_saveexec_b32 s1, s4
	s_cbranch_execz .LBB5_6
; %bb.5:
	s_waitcnt vmcnt(0) lgkmcnt(0)
	v_cmp_neq_f64_e32 vcc_lo, 1.0, v[5:6]
	v_cmp_neq_f64_e64 s0, 0, v[7:8]
	s_delay_alu instid0(VALU_DEP_1) | instskip(NEXT) | instid1(SALU_CYCLE_1)
	s_or_b32 s0, vcc_lo, s0
	s_or_not1_b32 s0, s0, exec_lo
.LBB5_6:
	s_or_b32 exec_lo, exec_lo, s1
	s_and_saveexec_b32 s1, s0
	s_cbranch_execz .LBB5_39
; %bb.7:
	s_clause 0x1
	s_load_b128 s[4:7], s[2:3], 0x20
	s_load_b64 s[0:1], s[2:3], 0x30
	s_waitcnt lgkmcnt(0)
	s_cmp_eq_u64 s[4:5], 0
	s_cbranch_scc1 .LBB5_9
; %bb.8:
	s_ashr_i32 s13, s12, 31
	s_delay_alu instid0(SALU_CYCLE_1) | instskip(NEXT) | instid1(SALU_CYCLE_1)
	s_lshl_b64 s[8:9], s[12:13], 2
	s_add_u32 s4, s4, s8
	s_addc_u32 s5, s5, s9
	s_load_b32 s4, s[4:5], 0x0
	s_waitcnt lgkmcnt(0)
	s_sub_i32 s12, s4, s14
.LBB5_9:
	s_load_b32 s4, s[2:3], 0x4
	v_mul_u32_u24_e32 v0, 0x3334, v4
	v_mov_b32_e32 v2, 0
	v_mov_b32_e32 v3, 0
	s_delay_alu instid0(VALU_DEP_3) | instskip(NEXT) | instid1(VALU_DEP_1)
	v_lshrrev_b32_e32 v13, 16, v0
	v_mul_lo_u16 v0, v13, 5
	s_delay_alu instid0(VALU_DEP_1) | instskip(NEXT) | instid1(VALU_DEP_4)
	v_sub_nc_u16 v18, v4, v0
	v_dual_mov_b32 v0, v2 :: v_dual_mov_b32 v1, v3
	s_waitcnt lgkmcnt(0)
	s_cmp_eq_u32 s4, 1
	s_cselect_b32 vcc_lo, -1, 0
	s_cmp_lg_u32 s4, 1
	s_cselect_b32 s8, -1, 0
	s_ashr_i32 s13, s12, 31
	s_delay_alu instid0(SALU_CYCLE_1) | instskip(NEXT) | instid1(SALU_CYCLE_1)
	s_lshl_b64 s[4:5], s[12:13], 2
	s_add_u32 s6, s6, s4
	s_addc_u32 s7, s7, s5
	s_add_u32 s9, s6, 4
	s_addc_u32 s10, s7, 0
	;; [unrolled: 2-line block ×3, first 2 shown]
	s_cmp_eq_u64 s[0:1], 0
	s_cselect_b32 s1, s10, s5
	s_cselect_b32 s0, s9, s4
	s_load_b32 s10, s[6:7], 0x0
	s_load_b32 s9, s[0:1], 0x0
	s_load_b64 s[4:5], s[2:3], 0x60
	s_waitcnt lgkmcnt(0)
	s_cmp_ge_i32 s10, s9
	s_cbranch_scc1 .LBB5_14
; %bb.10:
	v_mul_lo_u16 v0, v13, 52
	s_clause 0x1
	s_load_b64 s[6:7], s[2:3], 0x48
	s_load_b128 s[0:3], s[2:3], 0x38
	v_and_b32_e32 v14, 0xffff, v4
	v_and_b32_e32 v15, 0xffff, v18
	s_mul_i32 s11, s14, 25
	v_lshrrev_b16 v0, 8, v0
	s_sub_i32 s9, s9, s14
	s_delay_alu instid0(VALU_DEP_1) | instskip(SKIP_3) | instid1(VALU_DEP_2)
	v_mul_lo_u16 v2, v0, 5
	s_waitcnt vmcnt(0)
	v_mad_u64_u32 v[0:1], null, s10, 25, v[4:5]
	s_sub_i32 s10, s10, s14
	v_sub_nc_u16 v1, v13, v2
	v_mov_b32_e32 v2, 0
	v_mov_b32_e32 v3, 0
	v_mul_u32_u24_e32 v16, 0xa3e, v14
	v_subrev_nc_u32_e32 v13, s11, v0
	v_dual_mov_b32 v14, 0 :: v_dual_and_b32 v1, 0xff, v1
	s_delay_alu instid0(VALU_DEP_3) | instskip(NEXT) | instid1(VALU_DEP_2)
	v_lshrrev_b32_e32 v19, 16, v16
	v_dual_cndmask_b32 v15, v15, v1 :: v_dual_mov_b32 v0, v2
	v_mov_b32_e32 v1, v3
	s_set_inst_prefetch_distance 0x1
	s_branch .LBB5_12
	.p2align	6
.LBB5_11:                               ;   in Loop: Header=BB5_12 Depth=1
	s_or_b32 exec_lo, exec_lo, s11
	v_add_nc_u32_e32 v13, 50, v13
	s_add_i32 s10, s10, 2
	s_delay_alu instid0(SALU_CYCLE_1)
	s_cmp_ge_i32 s10, s9
	s_cbranch_scc1 .LBB5_14
.LBB5_12:                               ; =>This Inner Loop Header: Depth=1
	v_add_nc_u32_e32 v16, s10, v19
	s_mov_b32 s11, exec_lo
	s_delay_alu instid0(VALU_DEP_1)
	v_cmpx_gt_i32_e64 s9, v16
	s_cbranch_execz .LBB5_11
; %bb.13:                               ;   in Loop: Header=BB5_12 Depth=1
	v_ashrrev_i32_e32 v17, 31, v16
	s_delay_alu instid0(VALU_DEP_1) | instskip(SKIP_1) | instid1(VALU_DEP_1)
	v_lshlrev_b64 v[16:17], 2, v[16:17]
	s_waitcnt lgkmcnt(0)
	v_add_co_u32 v16, vcc_lo, s0, v16
	s_delay_alu instid0(VALU_DEP_2) | instskip(SKIP_3) | instid1(VALU_DEP_1)
	v_add_co_ci_u32_e32 v17, vcc_lo, s1, v17, vcc_lo
	global_load_b32 v16, v[16:17], off
	s_waitcnt vmcnt(0)
	v_subrev_nc_u32_e32 v20, s14, v16
	v_mad_u64_u32 v[16:17], null, v20, 5, v[15:16]
	v_lshlrev_b64 v[20:21], 4, v[13:14]
	s_delay_alu instid0(VALU_DEP_1) | instskip(NEXT) | instid1(VALU_DEP_3)
	v_add_co_u32 v20, vcc_lo, s2, v20
	v_ashrrev_i32_e32 v17, 31, v16
	s_delay_alu instid0(VALU_DEP_3) | instskip(NEXT) | instid1(VALU_DEP_2)
	v_add_co_ci_u32_e32 v21, vcc_lo, s3, v21, vcc_lo
	v_lshlrev_b64 v[16:17], 4, v[16:17]
	s_delay_alu instid0(VALU_DEP_1) | instskip(NEXT) | instid1(VALU_DEP_2)
	v_add_co_u32 v16, vcc_lo, s6, v16
	v_add_co_ci_u32_e32 v17, vcc_lo, s7, v17, vcc_lo
	global_load_b128 v[20:23], v[20:21], off
	global_load_b128 v[24:27], v[16:17], off
	s_waitcnt vmcnt(0)
	v_fma_f64 v[0:1], v[20:21], v[24:25], v[0:1]
	v_fma_f64 v[2:3], v[22:23], v[24:25], v[2:3]
	s_delay_alu instid0(VALU_DEP_2) | instskip(NEXT) | instid1(VALU_DEP_2)
	v_fma_f64 v[0:1], -v[22:23], v[26:27], v[0:1]
	v_fma_f64 v[2:3], v[20:21], v[26:27], v[2:3]
	s_branch .LBB5_11
.LBB5_14:
	s_set_inst_prefetch_distance 0x2
	v_lshlrev_b32_e32 v17, 4, v4
	s_and_b32 vcc_lo, exec_lo, s8
	ds_store_b128 v17, v[0:3]
	s_waitcnt vmcnt(0) lgkmcnt(0)
	buffer_gl0_inv
	s_cbranch_vccz .LBB5_24
; %bb.15:
	s_mov_b32 s0, exec_lo
	v_cmpx_gt_u32_e32 25, v4
	s_cbranch_execz .LBB5_17
; %bb.16:
	ds_load_b128 v[13:16], v17 offset:400
	ds_load_b128 v[19:22], v17
	s_waitcnt lgkmcnt(0)
	v_add_f64 v[13:14], v[13:14], v[19:20]
	v_add_f64 v[15:16], v[15:16], v[21:22]
	ds_store_b128 v17, v[13:16]
.LBB5_17:
	s_or_b32 exec_lo, exec_lo, s0
	s_delay_alu instid0(SALU_CYCLE_1)
	s_mov_b32 s0, exec_lo
	s_waitcnt lgkmcnt(0)
	buffer_gl0_inv
	v_cmpx_eq_u16_e32 0, v18
	s_cbranch_execz .LBB5_19
; %bb.18:
	ds_load_b128 v[13:16], v17 offset:64
	ds_load_b128 v[19:22], v17
	s_waitcnt lgkmcnt(0)
	v_add_f64 v[13:14], v[13:14], v[19:20]
	v_add_f64 v[15:16], v[15:16], v[21:22]
	ds_store_b128 v17, v[13:16]
.LBB5_19:
	s_or_b32 exec_lo, exec_lo, s0
	s_delay_alu instid0(SALU_CYCLE_1)
	s_mov_b32 s0, exec_lo
	s_waitcnt lgkmcnt(0)
	buffer_gl0_inv
	v_cmpx_gt_u16_e32 2, v18
	s_cbranch_execz .LBB5_21
; %bb.20:
	ds_load_b128 v[13:16], v17
	ds_load_b128 v[18:21], v17 offset:32
	s_waitcnt lgkmcnt(0)
	v_add_f64 v[13:14], v[18:19], v[13:14]
	v_add_f64 v[15:16], v[20:21], v[15:16]
	ds_store_b128 v17, v[13:16]
.LBB5_21:
	s_or_b32 exec_lo, exec_lo, s0
	v_dual_mov_b32 v16, v3 :: v_dual_mov_b32 v15, v2
	v_dual_mov_b32 v14, v1 :: v_dual_mov_b32 v13, v0
	s_mov_b32 s0, exec_lo
	s_waitcnt lgkmcnt(0)
	buffer_gl0_inv
	v_cmpx_gt_u32_e32 5, v4
	s_cbranch_execz .LBB5_23
; %bb.22:
	v_lshl_add_u32 v18, v4, 6, v17
	ds_load_b128 v[13:16], v18
	ds_load_b128 v[18:21], v18 offset:16
	s_waitcnt lgkmcnt(0)
	v_add_f64 v[13:14], v[18:19], v[13:14]
	v_add_f64 v[15:16], v[20:21], v[15:16]
.LBB5_23:
	s_or_b32 exec_lo, exec_lo, s0
	s_branch .LBB5_34
.LBB5_24:
                                        ; implicit-def: $vgpr15_vgpr16
                                        ; implicit-def: $vgpr13_vgpr14
	s_cbranch_execz .LBB5_34
; %bb.25:
	v_cmp_gt_u32_e32 vcc_lo, 10, v4
	s_and_saveexec_b32 s0, vcc_lo
	s_cbranch_execz .LBB5_27
; %bb.26:
	ds_load_b128 v[13:16], v17 offset:640
	ds_load_b128 v[18:21], v17
	s_waitcnt lgkmcnt(0)
	v_add_f64 v[13:14], v[13:14], v[18:19]
	v_add_f64 v[15:16], v[15:16], v[20:21]
	ds_store_b128 v17, v[13:16]
.LBB5_27:
	s_or_b32 exec_lo, exec_lo, s0
	s_delay_alu instid0(SALU_CYCLE_1)
	s_mov_b32 s1, exec_lo
	s_waitcnt lgkmcnt(0)
	buffer_gl0_inv
	v_cmpx_gt_u32_e32 20, v4
	s_cbranch_execz .LBB5_29
; %bb.28:
	ds_load_b128 v[13:16], v17 offset:320
	ds_load_b128 v[18:21], v17
	s_waitcnt lgkmcnt(0)
	v_add_f64 v[13:14], v[13:14], v[18:19]
	v_add_f64 v[15:16], v[15:16], v[20:21]
	ds_store_b128 v17, v[13:16]
.LBB5_29:
	s_or_b32 exec_lo, exec_lo, s1
	s_waitcnt lgkmcnt(0)
	buffer_gl0_inv
	s_and_saveexec_b32 s0, vcc_lo
	s_cbranch_execz .LBB5_31
; %bb.30:
	ds_load_b128 v[13:16], v17 offset:160
	ds_load_b128 v[18:21], v17
	s_waitcnt lgkmcnt(0)
	v_add_f64 v[13:14], v[13:14], v[18:19]
	v_add_f64 v[15:16], v[15:16], v[20:21]
	ds_store_b128 v17, v[13:16]
.LBB5_31:
	s_or_b32 exec_lo, exec_lo, s0
	s_delay_alu instid0(SALU_CYCLE_1)
	s_mov_b32 s0, exec_lo
	s_waitcnt lgkmcnt(0)
	buffer_gl0_inv
	v_cmpx_gt_u32_e32 5, v4
	s_cbranch_execz .LBB5_33
; %bb.32:
	ds_load_b128 v[0:3], v17 offset:80
	ds_load_b128 v[13:16], v17
	s_waitcnt lgkmcnt(0)
	v_add_f64 v[0:1], v[0:1], v[13:14]
	v_add_f64 v[2:3], v[2:3], v[15:16]
.LBB5_33:
	s_or_b32 exec_lo, exec_lo, s0
	s_delay_alu instid0(VALU_DEP_1) | instskip(NEXT) | instid1(VALU_DEP_3)
	v_dual_mov_b32 v16, v3 :: v_dual_mov_b32 v15, v2
	v_dual_mov_b32 v14, v1 :: v_dual_mov_b32 v13, v0
.LBB5_34:
	v_cmp_gt_u32_e32 vcc_lo, 5, v4
	s_and_b32 exec_lo, exec_lo, vcc_lo
	s_cbranch_execz .LBB5_39
; %bb.35:
	s_delay_alu instid0(VALU_DEP_2) | instskip(SKIP_3) | instid1(VALU_DEP_4)
	v_mul_f64 v[0:1], v[15:16], -v[11:12]
	v_mul_f64 v[2:3], v[9:10], v[15:16]
	v_cmp_eq_f64_e32 vcc_lo, 0, v[5:6]
	v_cmp_eq_f64_e64 s0, 0, v[7:8]
	v_fma_f64 v[0:1], v[9:10], v[13:14], v[0:1]
	s_delay_alu instid0(VALU_DEP_4) | instskip(NEXT) | instid1(VALU_DEP_3)
	v_fma_f64 v[2:3], v[11:12], v[13:14], v[2:3]
	s_and_b32 s0, vcc_lo, s0
	s_delay_alu instid0(SALU_CYCLE_1) | instskip(NEXT) | instid1(SALU_CYCLE_1)
	s_and_saveexec_b32 s1, s0
	s_xor_b32 s0, exec_lo, s1
	s_cbranch_execz .LBB5_37
; %bb.36:
	v_mad_u64_u32 v[5:6], null, s12, 5, v[4:5]
	v_mov_b32_e32 v6, 0
                                        ; implicit-def: $vgpr7_vgpr8
	s_delay_alu instid0(VALU_DEP_1) | instskip(NEXT) | instid1(VALU_DEP_1)
	v_lshlrev_b64 v[4:5], 4, v[5:6]
	v_add_co_u32 v4, vcc_lo, s4, v4
	s_delay_alu instid0(VALU_DEP_2)
	v_add_co_ci_u32_e32 v5, vcc_lo, s5, v5, vcc_lo
	global_store_b128 v[4:5], v[0:3], off
                                        ; implicit-def: $vgpr4
                                        ; implicit-def: $vgpr5_vgpr6
                                        ; implicit-def: $vgpr0_vgpr1
.LBB5_37:
	s_and_not1_saveexec_b32 s0, s0
	s_cbranch_execz .LBB5_39
; %bb.38:
	v_mad_u64_u32 v[9:10], null, s12, 5, v[4:5]
	v_mov_b32_e32 v10, 0
	s_delay_alu instid0(VALU_DEP_1) | instskip(NEXT) | instid1(VALU_DEP_1)
	v_lshlrev_b64 v[9:10], 4, v[9:10]
	v_add_co_u32 v13, vcc_lo, s4, v9
	s_delay_alu instid0(VALU_DEP_2) | instskip(SKIP_4) | instid1(VALU_DEP_2)
	v_add_co_ci_u32_e32 v14, vcc_lo, s5, v10, vcc_lo
	global_load_b128 v[9:12], v[13:14], off
	s_waitcnt vmcnt(0)
	v_fma_f64 v[0:1], v[5:6], v[9:10], v[0:1]
	v_fma_f64 v[2:3], v[7:8], v[9:10], v[2:3]
	v_fma_f64 v[0:1], -v[7:8], v[11:12], v[0:1]
	s_delay_alu instid0(VALU_DEP_2)
	v_fma_f64 v[2:3], v[5:6], v[11:12], v[2:3]
	global_store_b128 v[13:14], v[0:3], off
.LBB5_39:
	s_nop 0
	s_sendmsg sendmsg(MSG_DEALLOC_VGPRS)
	s_endpgm
	.section	.rodata,"a",@progbits
	.p2align	6, 0x0
	.amdhsa_kernel _ZN9rocsparseL18bsrxmvn_5x5_kernelILj50E21rocsparse_complex_numIdEiiS2_S2_S2_EEvT2_20rocsparse_direction_NS_24const_host_device_scalarIT0_EES3_PKS3_PKT1_SC_S9_PKT3_PKT4_S7_PT5_21rocsparse_index_base_b
		.amdhsa_group_segment_fixed_size 1600
		.amdhsa_private_segment_fixed_size 0
		.amdhsa_kernarg_size 112
		.amdhsa_user_sgpr_count 15
		.amdhsa_user_sgpr_dispatch_ptr 1
		.amdhsa_user_sgpr_queue_ptr 0
		.amdhsa_user_sgpr_kernarg_segment_ptr 1
		.amdhsa_user_sgpr_dispatch_id 0
		.amdhsa_user_sgpr_private_segment_size 0
		.amdhsa_wavefront_size32 1
		.amdhsa_uses_dynamic_stack 0
		.amdhsa_enable_private_segment 0
		.amdhsa_system_sgpr_workgroup_id_x 1
		.amdhsa_system_sgpr_workgroup_id_y 0
		.amdhsa_system_sgpr_workgroup_id_z 0
		.amdhsa_system_sgpr_workgroup_info 0
		.amdhsa_system_vgpr_workitem_id 2
		.amdhsa_next_free_vgpr 28
		.amdhsa_next_free_sgpr 18
		.amdhsa_reserve_vcc 1
		.amdhsa_float_round_mode_32 0
		.amdhsa_float_round_mode_16_64 0
		.amdhsa_float_denorm_mode_32 3
		.amdhsa_float_denorm_mode_16_64 3
		.amdhsa_dx10_clamp 1
		.amdhsa_ieee_mode 1
		.amdhsa_fp16_overflow 0
		.amdhsa_workgroup_processor_mode 1
		.amdhsa_memory_ordered 1
		.amdhsa_forward_progress 0
		.amdhsa_shared_vgpr_count 0
		.amdhsa_exception_fp_ieee_invalid_op 0
		.amdhsa_exception_fp_denorm_src 0
		.amdhsa_exception_fp_ieee_div_zero 0
		.amdhsa_exception_fp_ieee_overflow 0
		.amdhsa_exception_fp_ieee_underflow 0
		.amdhsa_exception_fp_ieee_inexact 0
		.amdhsa_exception_int_div_zero 0
	.end_amdhsa_kernel
	.section	.text._ZN9rocsparseL18bsrxmvn_5x5_kernelILj50E21rocsparse_complex_numIdEiiS2_S2_S2_EEvT2_20rocsparse_direction_NS_24const_host_device_scalarIT0_EES3_PKS3_PKT1_SC_S9_PKT3_PKT4_S7_PT5_21rocsparse_index_base_b,"axG",@progbits,_ZN9rocsparseL18bsrxmvn_5x5_kernelILj50E21rocsparse_complex_numIdEiiS2_S2_S2_EEvT2_20rocsparse_direction_NS_24const_host_device_scalarIT0_EES3_PKS3_PKT1_SC_S9_PKT3_PKT4_S7_PT5_21rocsparse_index_base_b,comdat
.Lfunc_end5:
	.size	_ZN9rocsparseL18bsrxmvn_5x5_kernelILj50E21rocsparse_complex_numIdEiiS2_S2_S2_EEvT2_20rocsparse_direction_NS_24const_host_device_scalarIT0_EES3_PKS3_PKT1_SC_S9_PKT3_PKT4_S7_PT5_21rocsparse_index_base_b, .Lfunc_end5-_ZN9rocsparseL18bsrxmvn_5x5_kernelILj50E21rocsparse_complex_numIdEiiS2_S2_S2_EEvT2_20rocsparse_direction_NS_24const_host_device_scalarIT0_EES3_PKS3_PKT1_SC_S9_PKT3_PKT4_S7_PT5_21rocsparse_index_base_b
                                        ; -- End function
	.section	.AMDGPU.csdata,"",@progbits
; Kernel info:
; codeLenInByte = 1840
; NumSgprs: 20
; NumVgprs: 28
; ScratchSize: 0
; MemoryBound: 0
; FloatMode: 240
; IeeeMode: 1
; LDSByteSize: 1600 bytes/workgroup (compile time only)
; SGPRBlocks: 2
; VGPRBlocks: 3
; NumSGPRsForWavesPerEU: 20
; NumVGPRsForWavesPerEU: 28
; Occupancy: 16
; WaveLimiterHint : 1
; COMPUTE_PGM_RSRC2:SCRATCH_EN: 0
; COMPUTE_PGM_RSRC2:USER_SGPR: 15
; COMPUTE_PGM_RSRC2:TRAP_HANDLER: 0
; COMPUTE_PGM_RSRC2:TGID_X_EN: 1
; COMPUTE_PGM_RSRC2:TGID_Y_EN: 0
; COMPUTE_PGM_RSRC2:TGID_Z_EN: 0
; COMPUTE_PGM_RSRC2:TIDIG_COMP_CNT: 2
	.section	.text._ZN9rocsparseL18bsrxmvn_5x5_kernelILj50EflifffEEvT2_20rocsparse_direction_NS_24const_host_device_scalarIT0_EES1_PKS1_PKT1_SA_S7_PKT3_PKT4_S5_PT5_21rocsparse_index_base_b,"axG",@progbits,_ZN9rocsparseL18bsrxmvn_5x5_kernelILj50EflifffEEvT2_20rocsparse_direction_NS_24const_host_device_scalarIT0_EES1_PKS1_PKT1_SA_S7_PKT3_PKT4_S5_PT5_21rocsparse_index_base_b,comdat
	.globl	_ZN9rocsparseL18bsrxmvn_5x5_kernelILj50EflifffEEvT2_20rocsparse_direction_NS_24const_host_device_scalarIT0_EES1_PKS1_PKT1_SA_S7_PKT3_PKT4_S5_PT5_21rocsparse_index_base_b ; -- Begin function _ZN9rocsparseL18bsrxmvn_5x5_kernelILj50EflifffEEvT2_20rocsparse_direction_NS_24const_host_device_scalarIT0_EES1_PKS1_PKT1_SA_S7_PKT3_PKT4_S5_PT5_21rocsparse_index_base_b
	.p2align	8
	.type	_ZN9rocsparseL18bsrxmvn_5x5_kernelILj50EflifffEEvT2_20rocsparse_direction_NS_24const_host_device_scalarIT0_EES1_PKS1_PKT1_SA_S7_PKT3_PKT4_S5_PT5_21rocsparse_index_base_b,@function
_ZN9rocsparseL18bsrxmvn_5x5_kernelILj50EflifffEEvT2_20rocsparse_direction_NS_24const_host_device_scalarIT0_EES1_PKS1_PKT1_SA_S7_PKT3_PKT4_S5_PT5_21rocsparse_index_base_b: ; @_ZN9rocsparseL18bsrxmvn_5x5_kernelILj50EflifffEEvT2_20rocsparse_direction_NS_24const_host_device_scalarIT0_EES1_PKS1_PKT1_SA_S7_PKT3_PKT4_S5_PT5_21rocsparse_index_base_b
; %bb.0:
	s_mov_b32 s10, s15
	s_clause 0x2
	s_load_b64 s[14:15], s[0:1], 0x58
	s_load_b64 s[12:13], s[0:1], 0x8
	;; [unrolled: 1-line block ×3, first 2 shown]
	s_waitcnt lgkmcnt(0)
	s_bitcmp1_b32 s15, 0
	s_cselect_b32 s2, -1, 0
	s_delay_alu instid0(SALU_CYCLE_1)
	s_and_b32 vcc_lo, exec_lo, s2
	s_xor_b32 s2, s2, -1
	s_cbranch_vccnz .LBB6_2
; %bb.1:
	s_load_b32 s12, s[12:13], 0x0
.LBB6_2:
	s_and_not1_b32 vcc_lo, exec_lo, s2
	s_cbranch_vccnz .LBB6_4
; %bb.3:
	s_load_b32 s8, s[8:9], 0x0
.LBB6_4:
	s_waitcnt lgkmcnt(0)
	v_cmp_neq_f32_e64 s2, s12, 0
	v_cmp_neq_f32_e64 s3, s8, 1.0
	s_delay_alu instid0(VALU_DEP_1) | instskip(NEXT) | instid1(SALU_CYCLE_1)
	s_or_b32 s2, s2, s3
	s_and_not1_b32 vcc_lo, exec_lo, s2
	s_cbranch_vccnz .LBB6_38
; %bb.5:
	s_clause 0x1
	s_load_b128 s[4:7], s[0:1], 0x18
	s_load_b64 s[16:17], s[0:1], 0x28
	s_waitcnt lgkmcnt(0)
	s_cmp_eq_u64 s[4:5], 0
	s_cbranch_scc1 .LBB6_7
; %bb.6:
	s_ashr_i32 s11, s10, 31
	s_delay_alu instid0(SALU_CYCLE_1) | instskip(NEXT) | instid1(SALU_CYCLE_1)
	s_lshl_b64 s[2:3], s[10:11], 2
	s_add_u32 s2, s4, s2
	s_addc_u32 s3, s5, s3
	s_load_b32 s2, s[2:3], 0x0
	s_waitcnt lgkmcnt(0)
	s_sub_i32 s10, s2, s14
.LBB6_7:
	s_load_b32 s3, s[0:1], 0x4
	v_mul_u32_u24_e32 v1, 0x3334, v0
	v_dual_mov_b32 v2, 0 :: v_dual_lshlrev_b32 v7, 2, v0
	s_delay_alu instid0(VALU_DEP_2) | instskip(NEXT) | instid1(VALU_DEP_1)
	v_lshrrev_b32_e32 v3, 16, v1
	v_mul_lo_u16 v1, v3, 5
	s_delay_alu instid0(VALU_DEP_1)
	v_sub_nc_u16 v8, v0, v1
	s_waitcnt lgkmcnt(0)
	s_cmp_eq_u32 s3, 1
	s_cselect_b32 s2, -1, 0
	s_cmp_lg_u32 s3, 1
	s_cselect_b32 s9, -1, 0
	s_ashr_i32 s11, s10, 31
	s_delay_alu instid0(SALU_CYCLE_1) | instskip(NEXT) | instid1(SALU_CYCLE_1)
	s_lshl_b64 s[4:5], s[10:11], 3
	s_add_u32 s6, s6, s4
	s_addc_u32 s7, s7, s5
	s_add_u32 s3, s6, 8
	s_addc_u32 s11, s7, 0
	;; [unrolled: 2-line block ×3, first 2 shown]
	s_cmp_eq_u64 s[16:17], 0
	s_cselect_b32 s5, s11, s5
	s_cselect_b32 s4, s3, s4
	s_load_b64 s[16:17], s[6:7], 0x0
	s_load_b64 s[6:7], s[4:5], 0x0
	;; [unrolled: 1-line block ×3, first 2 shown]
	s_waitcnt lgkmcnt(0)
	v_cmp_ge_i64_e64 s3, s[16:17], s[6:7]
	s_delay_alu instid0(VALU_DEP_1)
	s_and_b32 vcc_lo, exec_lo, s3
	s_cbranch_vccnz .LBB6_12
; %bb.8:
	v_mul_lo_u16 v4, v3, 52
	v_dual_mov_b32 v2, 0 :: v_dual_lshlrev_b32 v1, 2, v0
	s_clause 0x1
	s_load_b128 s[20:23], s[0:1], 0x30
	s_load_b64 s[0:1], s[0:1], 0x40
	s_mul_i32 s11, s14, 0x64
	v_lshrrev_b16 v6, 8, v4
	s_mul_hi_u32 s3, s14, 0x64
	v_mad_u64_u32 v[4:5], null, 0x64, s16, v[1:2]
	v_and_b32_e32 v1, 0xffff, v0
	s_delay_alu instid0(VALU_DEP_3)
	v_mul_lo_u16 v6, v6, 5
	v_and_b32_e32 v10, 0xffff, v8
	s_sub_u32 s6, s6, s14
	s_subb_u32 s7, s7, 0
	v_mul_u32_u24_e32 v9, 0xa3e, v1
	v_mov_b32_e32 v1, v5
	v_sub_nc_u16 v3, v3, v6
	s_delay_alu instid0(VALU_DEP_3) | instskip(NEXT) | instid1(VALU_DEP_3)
	v_lshrrev_b32_e32 v9, 16, v9
	v_mad_u64_u32 v[5:6], null, 0x64, s17, v[1:2]
	s_delay_alu instid0(VALU_DEP_3) | instskip(NEXT) | instid1(VALU_DEP_3)
	v_and_b32_e32 v1, 0xff, v3
	v_add_co_u32 v3, s13, s16, v9
	s_delay_alu instid0(VALU_DEP_1) | instskip(NEXT) | instid1(VALU_DEP_3)
	v_add_co_ci_u32_e64 v6, null, s17, 0, s13
	v_cndmask_b32_e64 v1, v10, v1, s2
	v_mov_b32_e32 v10, v5
	s_delay_alu instid0(VALU_DEP_4) | instskip(NEXT) | instid1(VALU_DEP_4)
	v_sub_co_u32 v5, vcc_lo, v3, s14
	v_subrev_co_ci_u32_e32 v6, vcc_lo, 0, v6, vcc_lo
	v_sub_co_u32 v3, vcc_lo, v4, s11
	s_delay_alu instid0(VALU_DEP_4) | instskip(NEXT) | instid1(VALU_DEP_3)
	v_subrev_co_ci_u32_e32 v4, vcc_lo, s3, v10, vcc_lo
	v_lshlrev_b64 v[5:6], 2, v[5:6]
	s_waitcnt lgkmcnt(0)
	s_delay_alu instid0(VALU_DEP_3) | instskip(NEXT) | instid1(VALU_DEP_3)
	v_add_co_u32 v3, vcc_lo, s22, v3
	v_add_co_ci_u32_e32 v4, vcc_lo, s23, v4, vcc_lo
	s_sub_u32 s2, s16, s14
	s_delay_alu instid0(VALU_DEP_3)
	v_add_co_u32 v5, vcc_lo, s20, v5
	v_add_co_ci_u32_e32 v6, vcc_lo, s21, v6, vcc_lo
	s_subb_u32 s3, s17, 0
	s_set_inst_prefetch_distance 0x1
	s_branch .LBB6_10
	.p2align	6
.LBB6_9:                                ;   in Loop: Header=BB6_10 Depth=1
	s_or_b32 exec_lo, exec_lo, s11
	s_add_u32 s2, s2, 2
	s_addc_u32 s3, s3, 0
	v_add_co_u32 v3, vcc_lo, 0xc8, v3
	v_cmp_ge_i64_e64 s11, s[2:3], s[6:7]
	v_add_co_ci_u32_e32 v4, vcc_lo, 0, v4, vcc_lo
	v_add_co_u32 v5, vcc_lo, v5, 8
	v_add_co_ci_u32_e32 v6, vcc_lo, 0, v6, vcc_lo
	s_delay_alu instid0(VALU_DEP_4)
	s_and_b32 vcc_lo, exec_lo, s11
	s_cbranch_vccnz .LBB6_12
.LBB6_10:                               ; =>This Inner Loop Header: Depth=1
	v_add_co_u32 v10, s11, v9, s2
	s_delay_alu instid0(VALU_DEP_1) | instskip(SKIP_1) | instid1(VALU_DEP_1)
	v_add_co_ci_u32_e64 v11, null, 0, s3, s11
	s_mov_b32 s11, exec_lo
	v_cmpx_gt_i64_e64 s[6:7], v[10:11]
	s_cbranch_execz .LBB6_9
; %bb.11:                               ;   in Loop: Header=BB6_10 Depth=1
	global_load_b32 v10, v[5:6], off
	s_waitcnt vmcnt(0)
	v_subrev_nc_u32_e32 v12, s14, v10
	s_delay_alu instid0(VALU_DEP_1) | instskip(NEXT) | instid1(VALU_DEP_1)
	v_mad_u64_u32 v[10:11], null, v12, 5, v[1:2]
	v_ashrrev_i32_e32 v11, 31, v10
	s_delay_alu instid0(VALU_DEP_1) | instskip(NEXT) | instid1(VALU_DEP_1)
	v_lshlrev_b64 v[10:11], 2, v[10:11]
	v_add_co_u32 v10, vcc_lo, s0, v10
	s_delay_alu instid0(VALU_DEP_2)
	v_add_co_ci_u32_e32 v11, vcc_lo, s1, v11, vcc_lo
	global_load_b32 v12, v[3:4], off
	global_load_b32 v10, v[10:11], off
	s_waitcnt vmcnt(0)
	v_fmac_f32_e32 v2, v12, v10
	s_branch .LBB6_9
.LBB6_12:
	s_set_inst_prefetch_distance 0x2
	s_and_b32 vcc_lo, exec_lo, s9
	ds_store_b32 v7, v2
	s_waitcnt lgkmcnt(0)
	buffer_gl0_inv
	s_cbranch_vccz .LBB6_22
; %bb.13:
	s_mov_b32 s0, exec_lo
	v_cmpx_gt_u32_e32 25, v0
	s_cbranch_execz .LBB6_15
; %bb.14:
	ds_load_2addr_b32 v[3:4], v7 offset1:25
	s_waitcnt lgkmcnt(0)
	v_add_f32_e32 v1, v4, v3
	ds_store_b32 v7, v1
.LBB6_15:
	s_or_b32 exec_lo, exec_lo, s0
	s_delay_alu instid0(SALU_CYCLE_1)
	s_mov_b32 s0, exec_lo
	s_waitcnt lgkmcnt(0)
	buffer_gl0_inv
	v_cmpx_eq_u16_e32 0, v8
	s_cbranch_execz .LBB6_17
; %bb.16:
	ds_load_2addr_b32 v[3:4], v7 offset1:4
	s_waitcnt lgkmcnt(0)
	v_add_f32_e32 v1, v4, v3
	ds_store_b32 v7, v1
.LBB6_17:
	s_or_b32 exec_lo, exec_lo, s0
	s_delay_alu instid0(SALU_CYCLE_1)
	s_mov_b32 s0, exec_lo
	s_waitcnt lgkmcnt(0)
	buffer_gl0_inv
	v_cmpx_gt_u16_e32 2, v8
	s_cbranch_execz .LBB6_19
; %bb.18:
	ds_load_2addr_b32 v[3:4], v7 offset1:2
	s_waitcnt lgkmcnt(0)
	v_add_f32_e32 v1, v4, v3
	ds_store_b32 v7, v1
.LBB6_19:
	s_or_b32 exec_lo, exec_lo, s0
	s_mov_b32 s0, 0
	s_mov_b32 s1, 0
	s_mov_b32 s2, exec_lo
	s_waitcnt lgkmcnt(0)
	buffer_gl0_inv
                                        ; implicit-def: $vgpr1
                                        ; implicit-def: $vgpr3
	v_cmpx_gt_u32_e32 5, v0
	s_xor_b32 s2, exec_lo, s2
; %bb.20:
	v_mad_u32_u24 v1, v0, 5, 1
	v_lshl_add_u32 v3, v0, 4, v7
	s_mov_b32 s1, exec_lo
; %bb.21:
	s_or_b32 exec_lo, exec_lo, s2
	s_delay_alu instid0(SALU_CYCLE_1)
	s_and_b32 vcc_lo, exec_lo, s0
	s_cbranch_vccnz .LBB6_23
	s_branch .LBB6_32
.LBB6_22:
	s_mov_b32 s1, 0
                                        ; implicit-def: $vgpr1
                                        ; implicit-def: $vgpr3
	s_cbranch_execz .LBB6_32
.LBB6_23:
	v_cmp_gt_u32_e32 vcc_lo, 10, v0
	s_and_saveexec_b32 s0, vcc_lo
	s_cbranch_execz .LBB6_25
; %bb.24:
	ds_load_2addr_b32 v[3:4], v7 offset1:40
	s_waitcnt lgkmcnt(0)
	v_add_f32_e32 v1, v4, v3
	ds_store_b32 v7, v1
.LBB6_25:
	s_or_b32 exec_lo, exec_lo, s0
	s_delay_alu instid0(SALU_CYCLE_1)
	s_mov_b32 s2, exec_lo
	s_waitcnt lgkmcnt(0)
	buffer_gl0_inv
	v_cmpx_gt_u32_e32 20, v0
	s_cbranch_execz .LBB6_27
; %bb.26:
	ds_load_2addr_b32 v[3:4], v7 offset1:20
	s_waitcnt lgkmcnt(0)
	v_add_f32_e32 v1, v4, v3
	ds_store_b32 v7, v1
.LBB6_27:
	s_or_b32 exec_lo, exec_lo, s2
	s_waitcnt lgkmcnt(0)
	buffer_gl0_inv
	s_and_saveexec_b32 s0, vcc_lo
	s_cbranch_execz .LBB6_29
; %bb.28:
	ds_load_2addr_b32 v[3:4], v7 offset1:10
	s_waitcnt lgkmcnt(0)
	v_add_f32_e32 v1, v4, v3
	ds_store_b32 v7, v1
.LBB6_29:
	s_or_b32 exec_lo, exec_lo, s0
	s_delay_alu instid0(SALU_CYCLE_1)
	s_mov_b32 s0, exec_lo
	s_waitcnt lgkmcnt(0)
	buffer_gl0_inv
                                        ; implicit-def: $vgpr1
	v_cmpx_gt_u32_e32 5, v0
; %bb.30:
	v_add_nc_u32_e32 v1, 5, v0
	s_or_b32 s1, s1, exec_lo
                                        ; implicit-def: $vgpr2
; %bb.31:
	s_or_b32 exec_lo, exec_lo, s0
	v_mov_b32_e32 v3, v7
.LBB6_32:
	s_and_saveexec_b32 s0, s1
	s_cbranch_execz .LBB6_34
; %bb.33:
	v_lshlrev_b32_e32 v1, 2, v1
	ds_load_b32 v2, v3
	ds_load_b32 v1, v1
	s_waitcnt lgkmcnt(0)
	v_add_f32_e32 v2, v2, v1
.LBB6_34:
	s_or_b32 exec_lo, exec_lo, s0
	s_delay_alu instid0(SALU_CYCLE_1)
	s_mov_b32 s0, exec_lo
	v_cmpx_gt_u32_e32 5, v0
	s_cbranch_execz .LBB6_38
; %bb.35:
	v_cmp_eq_f32_e64 s0, s8, 0
	v_mul_f32_e32 v1, s12, v2
	s_delay_alu instid0(VALU_DEP_2)
	s_and_b32 vcc_lo, exec_lo, s0
	s_mov_b32 s0, 0
	s_cbranch_vccz .LBB6_39
; %bb.36:
	s_delay_alu instid0(VALU_DEP_1) | instskip(SKIP_1) | instid1(VALU_DEP_1)
	v_mad_u64_u32 v[2:3], null, s10, 5, v[0:1]
	v_mov_b32_e32 v3, 0
	v_lshlrev_b64 v[2:3], 2, v[2:3]
	s_delay_alu instid0(VALU_DEP_1) | instskip(NEXT) | instid1(VALU_DEP_2)
	v_add_co_u32 v2, vcc_lo, s4, v2
	v_add_co_ci_u32_e32 v3, vcc_lo, s5, v3, vcc_lo
	global_store_b32 v[2:3], v1, off
	s_and_not1_b32 vcc_lo, exec_lo, s0
	s_cbranch_vccnz .LBB6_38
.LBB6_37:
	v_mad_u64_u32 v[2:3], null, s10, 5, v[0:1]
	v_mov_b32_e32 v3, 0
	s_delay_alu instid0(VALU_DEP_1) | instskip(NEXT) | instid1(VALU_DEP_1)
	v_lshlrev_b64 v[2:3], 2, v[2:3]
	v_add_co_u32 v2, vcc_lo, s4, v2
	s_delay_alu instid0(VALU_DEP_2)
	v_add_co_ci_u32_e32 v3, vcc_lo, s5, v3, vcc_lo
	global_load_b32 v0, v[2:3], off
	s_waitcnt vmcnt(0)
	v_fmac_f32_e32 v1, s8, v0
	global_store_b32 v[2:3], v1, off
.LBB6_38:
	s_nop 0
	s_sendmsg sendmsg(MSG_DEALLOC_VGPRS)
	s_endpgm
.LBB6_39:
	s_branch .LBB6_37
	.section	.rodata,"a",@progbits
	.p2align	6, 0x0
	.amdhsa_kernel _ZN9rocsparseL18bsrxmvn_5x5_kernelILj50EflifffEEvT2_20rocsparse_direction_NS_24const_host_device_scalarIT0_EES1_PKS1_PKT1_SA_S7_PKT3_PKT4_S5_PT5_21rocsparse_index_base_b
		.amdhsa_group_segment_fixed_size 200
		.amdhsa_private_segment_fixed_size 0
		.amdhsa_kernarg_size 96
		.amdhsa_user_sgpr_count 15
		.amdhsa_user_sgpr_dispatch_ptr 0
		.amdhsa_user_sgpr_queue_ptr 0
		.amdhsa_user_sgpr_kernarg_segment_ptr 1
		.amdhsa_user_sgpr_dispatch_id 0
		.amdhsa_user_sgpr_private_segment_size 0
		.amdhsa_wavefront_size32 1
		.amdhsa_uses_dynamic_stack 0
		.amdhsa_enable_private_segment 0
		.amdhsa_system_sgpr_workgroup_id_x 1
		.amdhsa_system_sgpr_workgroup_id_y 0
		.amdhsa_system_sgpr_workgroup_id_z 0
		.amdhsa_system_sgpr_workgroup_info 0
		.amdhsa_system_vgpr_workitem_id 0
		.amdhsa_next_free_vgpr 13
		.amdhsa_next_free_sgpr 24
		.amdhsa_reserve_vcc 1
		.amdhsa_float_round_mode_32 0
		.amdhsa_float_round_mode_16_64 0
		.amdhsa_float_denorm_mode_32 3
		.amdhsa_float_denorm_mode_16_64 3
		.amdhsa_dx10_clamp 1
		.amdhsa_ieee_mode 1
		.amdhsa_fp16_overflow 0
		.amdhsa_workgroup_processor_mode 1
		.amdhsa_memory_ordered 1
		.amdhsa_forward_progress 0
		.amdhsa_shared_vgpr_count 0
		.amdhsa_exception_fp_ieee_invalid_op 0
		.amdhsa_exception_fp_denorm_src 0
		.amdhsa_exception_fp_ieee_div_zero 0
		.amdhsa_exception_fp_ieee_overflow 0
		.amdhsa_exception_fp_ieee_underflow 0
		.amdhsa_exception_fp_ieee_inexact 0
		.amdhsa_exception_int_div_zero 0
	.end_amdhsa_kernel
	.section	.text._ZN9rocsparseL18bsrxmvn_5x5_kernelILj50EflifffEEvT2_20rocsparse_direction_NS_24const_host_device_scalarIT0_EES1_PKS1_PKT1_SA_S7_PKT3_PKT4_S5_PT5_21rocsparse_index_base_b,"axG",@progbits,_ZN9rocsparseL18bsrxmvn_5x5_kernelILj50EflifffEEvT2_20rocsparse_direction_NS_24const_host_device_scalarIT0_EES1_PKS1_PKT1_SA_S7_PKT3_PKT4_S5_PT5_21rocsparse_index_base_b,comdat
.Lfunc_end6:
	.size	_ZN9rocsparseL18bsrxmvn_5x5_kernelILj50EflifffEEvT2_20rocsparse_direction_NS_24const_host_device_scalarIT0_EES1_PKS1_PKT1_SA_S7_PKT3_PKT4_S5_PT5_21rocsparse_index_base_b, .Lfunc_end6-_ZN9rocsparseL18bsrxmvn_5x5_kernelILj50EflifffEEvT2_20rocsparse_direction_NS_24const_host_device_scalarIT0_EES1_PKS1_PKT1_SA_S7_PKT3_PKT4_S5_PT5_21rocsparse_index_base_b
                                        ; -- End function
	.section	.AMDGPU.csdata,"",@progbits
; Kernel info:
; codeLenInByte = 1492
; NumSgprs: 26
; NumVgprs: 13
; ScratchSize: 0
; MemoryBound: 0
; FloatMode: 240
; IeeeMode: 1
; LDSByteSize: 200 bytes/workgroup (compile time only)
; SGPRBlocks: 3
; VGPRBlocks: 1
; NumSGPRsForWavesPerEU: 26
; NumVGPRsForWavesPerEU: 13
; Occupancy: 16
; WaveLimiterHint : 1
; COMPUTE_PGM_RSRC2:SCRATCH_EN: 0
; COMPUTE_PGM_RSRC2:USER_SGPR: 15
; COMPUTE_PGM_RSRC2:TRAP_HANDLER: 0
; COMPUTE_PGM_RSRC2:TGID_X_EN: 1
; COMPUTE_PGM_RSRC2:TGID_Y_EN: 0
; COMPUTE_PGM_RSRC2:TGID_Z_EN: 0
; COMPUTE_PGM_RSRC2:TIDIG_COMP_CNT: 0
	.section	.text._ZN9rocsparseL19sbsrxmvn_5x5_kernelILj256EL20rocsparse_direction_0EliEEvT2_NS_24const_host_device_scalarIfEES2_PKS2_PKT1_S9_S6_PKfSB_S4_Pf21rocsparse_index_base_b,"axG",@progbits,_ZN9rocsparseL19sbsrxmvn_5x5_kernelILj256EL20rocsparse_direction_0EliEEvT2_NS_24const_host_device_scalarIfEES2_PKS2_PKT1_S9_S6_PKfSB_S4_Pf21rocsparse_index_base_b,comdat
	.globl	_ZN9rocsparseL19sbsrxmvn_5x5_kernelILj256EL20rocsparse_direction_0EliEEvT2_NS_24const_host_device_scalarIfEES2_PKS2_PKT1_S9_S6_PKfSB_S4_Pf21rocsparse_index_base_b ; -- Begin function _ZN9rocsparseL19sbsrxmvn_5x5_kernelILj256EL20rocsparse_direction_0EliEEvT2_NS_24const_host_device_scalarIfEES2_PKS2_PKT1_S9_S6_PKfSB_S4_Pf21rocsparse_index_base_b
	.p2align	8
	.type	_ZN9rocsparseL19sbsrxmvn_5x5_kernelILj256EL20rocsparse_direction_0EliEEvT2_NS_24const_host_device_scalarIfEES2_PKS2_PKT1_S9_S6_PKfSB_S4_Pf21rocsparse_index_base_b,@function
_ZN9rocsparseL19sbsrxmvn_5x5_kernelILj256EL20rocsparse_direction_0EliEEvT2_NS_24const_host_device_scalarIfEES2_PKS2_PKT1_S9_S6_PKfSB_S4_Pf21rocsparse_index_base_b: ; @_ZN9rocsparseL19sbsrxmvn_5x5_kernelILj256EL20rocsparse_direction_0EliEEvT2_NS_24const_host_device_scalarIfEES2_PKS2_PKT1_S9_S6_PKfSB_S4_Pf21rocsparse_index_base_b
; %bb.0:
	s_clause 0x2
	s_load_b64 s[12:13], s[0:1], 0x58
	s_load_b64 s[8:9], s[0:1], 0x8
	;; [unrolled: 1-line block ×3, first 2 shown]
	s_waitcnt lgkmcnt(0)
	s_bitcmp1_b32 s13, 0
	s_cselect_b32 s2, -1, 0
	s_delay_alu instid0(SALU_CYCLE_1)
	s_and_b32 vcc_lo, exec_lo, s2
	s_xor_b32 s2, s2, -1
	s_cbranch_vccnz .LBB7_2
; %bb.1:
	s_load_b32 s8, s[8:9], 0x0
.LBB7_2:
	s_and_not1_b32 vcc_lo, exec_lo, s2
	s_cbranch_vccnz .LBB7_4
; %bb.3:
	s_load_b32 s10, s[10:11], 0x0
.LBB7_4:
	s_waitcnt lgkmcnt(0)
	v_cmp_neq_f32_e64 s2, s8, 0
	v_cmp_neq_f32_e64 s3, s10, 1.0
	s_delay_alu instid0(VALU_DEP_1) | instskip(NEXT) | instid1(SALU_CYCLE_1)
	s_or_b32 s2, s2, s3
	s_and_not1_b32 vcc_lo, exec_lo, s2
	s_cbranch_vccnz .LBB7_20
; %bb.5:
	s_clause 0x1
	s_load_b32 s4, s[0:1], 0x6c
	s_load_b64 s[2:3], s[0:1], 0x18
	v_bfe_u32 v3, v0, 10, 10
	s_waitcnt lgkmcnt(0)
	s_lshr_b32 s4, s4, 16
	s_cmp_eq_u64 s[2:3], 0
	s_delay_alu instid0(VALU_DEP_1)
	v_mad_u64_u32 v[1:2], null, s15, s4, v[3:4]
	s_cbranch_scc1 .LBB7_7
; %bb.6:
	s_delay_alu instid0(VALU_DEP_1) | instskip(NEXT) | instid1(VALU_DEP_1)
	v_ashrrev_i32_e32 v2, 31, v1
	v_lshlrev_b64 v[1:2], 2, v[1:2]
	s_delay_alu instid0(VALU_DEP_1) | instskip(NEXT) | instid1(VALU_DEP_2)
	v_add_co_u32 v1, vcc_lo, s2, v1
	v_add_co_ci_u32_e32 v2, vcc_lo, s3, v2, vcc_lo
	global_load_b32 v1, v[1:2], off
	s_waitcnt vmcnt(0)
	v_subrev_nc_u32_e32 v1, s12, v1
.LBB7_7:
	s_load_b32 s2, s[0:1], 0x0
	v_and_b32_e32 v15, 0x3ff, v0
	s_waitcnt lgkmcnt(0)
	s_delay_alu instid0(VALU_DEP_2) | instskip(NEXT) | instid1(VALU_DEP_2)
	v_cmp_gt_i32_e32 vcc_lo, s2, v1
	v_cmp_gt_u32_e64 s2, 25, v15
	s_delay_alu instid0(VALU_DEP_1) | instskip(NEXT) | instid1(SALU_CYCLE_1)
	s_and_b32 s2, s2, vcc_lo
	s_and_saveexec_b32 s3, s2
	s_cbranch_execz .LBB7_20
; %bb.8:
	s_clause 0x1
	s_load_b128 s[4:7], s[0:1], 0x20
	s_load_b64 s[2:3], s[0:1], 0x50
	v_ashrrev_i32_e32 v2, 31, v1
	v_mov_b32_e32 v16, 0
	s_mov_b32 s9, exec_lo
	s_delay_alu instid0(VALU_DEP_2) | instskip(SKIP_1) | instid1(VALU_DEP_1)
	v_lshlrev_b64 v[2:3], 3, v[1:2]
	s_waitcnt lgkmcnt(0)
	v_add_co_u32 v4, vcc_lo, s4, v2
	s_delay_alu instid0(VALU_DEP_2) | instskip(SKIP_2) | instid1(VALU_DEP_4)
	v_add_co_ci_u32_e32 v5, vcc_lo, s5, v3, vcc_lo
	v_add_co_u32 v0, vcc_lo, s6, v2
	v_add_co_ci_u32_e32 v2, vcc_lo, s7, v3, vcc_lo
	v_add_co_u32 v6, vcc_lo, v4, 8
	s_delay_alu instid0(VALU_DEP_4) | instskip(SKIP_2) | instid1(VALU_DEP_1)
	v_add_co_ci_u32_e32 v3, vcc_lo, 0, v5, vcc_lo
	s_cmp_eq_u64 s[6:7], 0
	s_cselect_b32 vcc_lo, -1, 0
	v_dual_cndmask_b32 v3, v2, v3 :: v_dual_cndmask_b32 v2, v0, v6
	global_load_b64 v[9:10], v[4:5], off
	global_load_b64 v[2:3], v[2:3], off
	v_mul_u32_u24_e32 v0, 0x3334, v15
	s_delay_alu instid0(VALU_DEP_1) | instskip(NEXT) | instid1(VALU_DEP_1)
	v_lshrrev_b32_e32 v4, 16, v0
	v_mul_lo_u16 v0, v4, 5
	s_delay_alu instid0(VALU_DEP_1) | instskip(NEXT) | instid1(VALU_DEP_1)
	v_sub_nc_u16 v0, v15, v0
	v_and_b32_e32 v0, 0xffff, v0
	s_waitcnt vmcnt(0)
	v_cmpx_lt_i64_e64 v[9:10], v[2:3]
	s_cbranch_execz .LBB7_18
; %bb.9:
	v_sub_co_u32 v2, vcc_lo, v2, s12
	v_subrev_co_ci_u32_e32 v3, vcc_lo, 0, v3, vcc_lo
	v_sub_co_u32 v5, vcc_lo, v9, s12
	v_subrev_co_ci_u32_e32 v6, vcc_lo, 0, v10, vcc_lo
	s_clause 0x1
	s_load_b128 s[4:7], s[0:1], 0x30
	s_load_b64 s[14:15], s[0:1], 0x40
	v_add_co_u32 v11, vcc_lo, v5, 1
	v_add_co_ci_u32_e32 v12, vcc_lo, 0, v6, vcc_lo
	v_mul_u32_u24_e32 v7, 5, v0
	v_mov_b32_e32 v16, 0
	s_mov_b32 s13, 0
	s_delay_alu instid0(VALU_DEP_3) | instskip(SKIP_3) | instid1(VALU_DEP_2)
	v_cmp_gt_i64_e32 vcc_lo, v[11:12], v[2:3]
	v_and_b32_e32 v4, 0xffff, v4
	s_mov_b32 s1, exec_lo
	v_cndmask_b32_e32 v11, v2, v11, vcc_lo
	v_add_lshl_u32 v7, v7, v4, 2
	v_cndmask_b32_e32 v12, v3, v12, vcc_lo
	s_delay_alu instid0(VALU_DEP_3) | instskip(SKIP_1) | instid1(VALU_DEP_3)
	v_add_co_u32 v17, vcc_lo, v11, s12
	s_waitcnt lgkmcnt(0)
	v_add_co_u32 v13, s0, s6, v7
	s_delay_alu instid0(VALU_DEP_1) | instskip(NEXT) | instid1(VALU_DEP_3)
	v_add_co_ci_u32_e64 v14, null, s7, 0, s0
	v_sub_nc_u32_e32 v11, v17, v9
	s_delay_alu instid0(VALU_DEP_2) | instskip(NEXT) | instid1(VALU_DEP_2)
	v_mad_u64_u32 v[7:8], null, 0x64, v5, v[13:14]
	v_and_b32_e32 v11, 3, v11
	v_add_co_ci_u32_e32 v18, vcc_lo, 0, v12, vcc_lo
	s_delay_alu instid0(VALU_DEP_3) | instskip(NEXT) | instid1(VALU_DEP_1)
	v_mad_u64_u32 v[12:13], null, 0x64, v6, v[8:9]
	v_mov_b32_e32 v8, v12
	s_delay_alu instid0(VALU_DEP_4)
	v_cmpx_ne_u32_e32 0, v11
	s_cbranch_execz .LBB7_13
; %bb.10:
	v_lshlrev_b64 v[13:14], 2, v[9:10]
	s_lshl_b64 s[6:7], s[12:13], 2
	v_mul_hi_u32_u24_e32 v12, 25, v11
	v_mul_u32_u24_e32 v11, 25, v11
	v_mov_b32_e32 v16, 0
	s_delay_alu instid0(VALU_DEP_4) | instskip(SKIP_1) | instid1(VALU_DEP_2)
	v_sub_co_u32 v13, vcc_lo, v13, s6
	v_subrev_co_ci_u32_e32 v14, vcc_lo, s7, v14, vcc_lo
	v_add_co_u32 v13, vcc_lo, s4, v13
	s_delay_alu instid0(VALU_DEP_2)
	v_add_co_ci_u32_e32 v14, vcc_lo, s5, v14, vcc_lo
	s_set_inst_prefetch_distance 0x1
	.p2align	6
.LBB7_11:                               ; =>This Inner Loop Header: Depth=1
	global_load_b32 v19, v[13:14], off
	v_add_co_u32 v13, s0, v13, 4
	s_delay_alu instid0(VALU_DEP_1) | instskip(SKIP_2) | instid1(VALU_DEP_1)
	v_add_co_ci_u32_e64 v14, s0, 0, v14, s0
	s_waitcnt vmcnt(0)
	v_subrev_nc_u32_e32 v21, s12, v19
	v_mad_u64_u32 v[19:20], null, v21, 5, v[4:5]
	s_delay_alu instid0(VALU_DEP_1) | instskip(NEXT) | instid1(VALU_DEP_1)
	v_ashrrev_i32_e32 v20, 31, v19
	v_lshlrev_b64 v[19:20], 2, v[19:20]
	s_delay_alu instid0(VALU_DEP_1) | instskip(NEXT) | instid1(VALU_DEP_2)
	v_add_co_u32 v19, vcc_lo, s14, v19
	v_add_co_ci_u32_e32 v20, vcc_lo, s15, v20, vcc_lo
	global_load_b32 v21, v[7:8], off
	global_load_b32 v19, v[19:20], off
	v_add_co_u32 v7, vcc_lo, 0x64, v7
	v_add_co_ci_u32_e32 v8, vcc_lo, 0, v8, vcc_lo
	v_add_co_u32 v11, vcc_lo, 0xffffffe7, v11
	v_add_co_ci_u32_e32 v12, vcc_lo, -1, v12, vcc_lo
	v_add_co_u32 v5, vcc_lo, v5, 1
	v_add_co_ci_u32_e32 v6, vcc_lo, 0, v6, vcc_lo
	s_delay_alu instid0(VALU_DEP_3)
	v_cmp_eq_u64_e32 vcc_lo, 0, v[11:12]
	s_or_b32 s13, vcc_lo, s13
	s_waitcnt vmcnt(0)
	v_fmac_f32_e32 v16, v21, v19
	s_and_not1_b32 exec_lo, exec_lo, s13
	s_cbranch_execnz .LBB7_11
; %bb.12:
	s_set_inst_prefetch_distance 0x2
	s_or_b32 exec_lo, exec_lo, s13
.LBB7_13:
	s_delay_alu instid0(SALU_CYCLE_1) | instskip(SKIP_3) | instid1(VALU_DEP_1)
	s_or_b32 exec_lo, exec_lo, s1
	v_sub_co_u32 v9, vcc_lo, v9, v17
	v_sub_co_ci_u32_e32 v10, vcc_lo, v10, v18, vcc_lo
	s_mov_b32 s1, exec_lo
	v_cmpx_gt_u64_e32 -3, v[9:10]
	s_cbranch_execz .LBB7_17
; %bb.14:
	v_lshlrev_b64 v[9:10], 2, v[5:6]
	s_delay_alu instid0(VALU_DEP_1) | instskip(NEXT) | instid1(VALU_DEP_2)
	v_add_co_u32 v9, vcc_lo, v9, s4
	v_add_co_ci_u32_e32 v10, vcc_lo, s5, v10, vcc_lo
	s_mov_b32 s4, 0
	s_delay_alu instid0(VALU_DEP_2) | instskip(NEXT) | instid1(VALU_DEP_2)
	v_add_co_u32 v9, vcc_lo, v9, 8
	v_add_co_ci_u32_e32 v10, vcc_lo, 0, v10, vcc_lo
.LBB7_15:                               ; =>This Inner Loop Header: Depth=1
	global_load_b128 v[11:14], v[9:10], off offset:-8
	s_clause 0x2
	global_load_b32 v21, v[7:8], off
	global_load_b32 v22, v[7:8], off offset:100
	global_load_b32 v23, v[7:8], off offset:200
	v_add_co_u32 v9, s0, v9, 16
	s_delay_alu instid0(VALU_DEP_1)
	v_add_co_ci_u32_e64 v10, s0, 0, v10, s0
	s_waitcnt vmcnt(3)
	v_subrev_nc_u32_e32 v17, s12, v11
	v_subrev_nc_u32_e32 v18, s12, v12
	;; [unrolled: 1-line block ×4, first 2 shown]
	s_delay_alu instid0(VALU_DEP_4) | instskip(NEXT) | instid1(VALU_DEP_4)
	v_mad_u64_u32 v[11:12], null, v17, 5, v[4:5]
	v_mad_u64_u32 v[13:14], null, v18, 5, v[4:5]
	s_delay_alu instid0(VALU_DEP_4) | instskip(NEXT) | instid1(VALU_DEP_4)
	v_mad_u64_u32 v[17:18], null, v19, 5, v[4:5]
	v_mad_u64_u32 v[19:20], null, v24, 5, v[4:5]
	s_delay_alu instid0(VALU_DEP_4) | instskip(NEXT) | instid1(VALU_DEP_4)
	v_ashrrev_i32_e32 v12, 31, v11
	v_ashrrev_i32_e32 v14, 31, v13
	s_delay_alu instid0(VALU_DEP_4) | instskip(NEXT) | instid1(VALU_DEP_3)
	v_ashrrev_i32_e32 v18, 31, v17
	v_lshlrev_b64 v[11:12], 2, v[11:12]
	v_ashrrev_i32_e32 v20, 31, v19
	s_delay_alu instid0(VALU_DEP_4) | instskip(NEXT) | instid1(VALU_DEP_4)
	v_lshlrev_b64 v[13:14], 2, v[13:14]
	v_lshlrev_b64 v[17:18], 2, v[17:18]
	s_delay_alu instid0(VALU_DEP_3)
	v_lshlrev_b64 v[19:20], 2, v[19:20]
	v_add_co_u32 v11, vcc_lo, s14, v11
	v_add_co_ci_u32_e32 v12, vcc_lo, s15, v12, vcc_lo
	v_add_co_u32 v13, vcc_lo, s14, v13
	v_add_co_ci_u32_e32 v14, vcc_lo, s15, v14, vcc_lo
	global_load_b32 v24, v[11:12], off
	v_add_co_u32 v11, vcc_lo, s14, v17
	global_load_b32 v17, v[13:14], off
	v_add_co_ci_u32_e32 v12, vcc_lo, s15, v18, vcc_lo
	v_add_co_u32 v13, vcc_lo, s14, v19
	v_add_co_ci_u32_e32 v14, vcc_lo, s15, v20, vcc_lo
	global_load_b32 v11, v[11:12], off
	global_load_b32 v12, v[7:8], off offset:300
	global_load_b32 v13, v[13:14], off
	v_add_co_u32 v5, vcc_lo, v5, 4
	v_add_co_ci_u32_e32 v6, vcc_lo, 0, v6, vcc_lo
	v_add_co_u32 v7, vcc_lo, 0x190, v7
	v_add_co_ci_u32_e32 v8, vcc_lo, 0, v8, vcc_lo
	s_delay_alu instid0(VALU_DEP_3) | instskip(SKIP_4) | instid1(VALU_DEP_1)
	v_cmp_ge_i64_e32 vcc_lo, v[5:6], v[2:3]
	s_or_b32 s4, vcc_lo, s4
	s_waitcnt vmcnt(4)
	v_fmac_f32_e32 v16, v21, v24
	s_waitcnt vmcnt(3)
	v_fmac_f32_e32 v16, v22, v17
	s_waitcnt vmcnt(2)
	s_delay_alu instid0(VALU_DEP_1) | instskip(SKIP_1) | instid1(VALU_DEP_1)
	v_fmac_f32_e32 v16, v23, v11
	s_waitcnt vmcnt(0)
	v_fmac_f32_e32 v16, v12, v13
	s_and_not1_b32 exec_lo, exec_lo, s4
	s_cbranch_execnz .LBB7_15
; %bb.16:
	s_or_b32 exec_lo, exec_lo, s4
.LBB7_17:
	s_delay_alu instid0(SALU_CYCLE_1)
	s_or_b32 exec_lo, exec_lo, s1
.LBB7_18:
	s_delay_alu instid0(SALU_CYCLE_1)
	s_or_b32 exec_lo, exec_lo, s9
	v_lshlrev_b32_e32 v5, 2, v0
	v_cmp_gt_u32_e32 vcc_lo, 5, v15
	ds_bpermute_b32 v2, v5, v16 offset:20
	ds_bpermute_b32 v3, v5, v16 offset:40
	;; [unrolled: 1-line block ×4, first 2 shown]
	s_and_b32 exec_lo, exec_lo, vcc_lo
	s_cbranch_execz .LBB7_20
; %bb.19:
	v_mad_u64_u32 v[6:7], null, v1, 5, v[0:1]
	s_waitcnt lgkmcnt(3)
	v_add_f32_e32 v2, v16, v2
	s_delay_alu instid0(VALU_DEP_2) | instskip(NEXT) | instid1(VALU_DEP_1)
	v_ashrrev_i32_e32 v7, 31, v6
	v_lshlrev_b64 v[0:1], 2, v[6:7]
	s_delay_alu instid0(VALU_DEP_1) | instskip(NEXT) | instid1(VALU_DEP_2)
	v_add_co_u32 v0, vcc_lo, s2, v0
	v_add_co_ci_u32_e32 v1, vcc_lo, s3, v1, vcc_lo
	global_load_b32 v6, v[0:1], off
	s_waitcnt vmcnt(0) lgkmcnt(2)
	v_dual_add_f32 v2, v2, v3 :: v_dual_mul_f32 v3, s10, v6
	s_waitcnt lgkmcnt(1)
	s_delay_alu instid0(VALU_DEP_1) | instskip(SKIP_1) | instid1(VALU_DEP_1)
	v_add_f32_e32 v2, v2, v4
	s_waitcnt lgkmcnt(0)
	v_add_f32_e32 v2, v2, v5
	s_delay_alu instid0(VALU_DEP_1)
	v_fmac_f32_e32 v3, s8, v2
	global_store_b32 v[0:1], v3, off
.LBB7_20:
	s_nop 0
	s_sendmsg sendmsg(MSG_DEALLOC_VGPRS)
	s_endpgm
	.section	.rodata,"a",@progbits
	.p2align	6, 0x0
	.amdhsa_kernel _ZN9rocsparseL19sbsrxmvn_5x5_kernelILj256EL20rocsparse_direction_0EliEEvT2_NS_24const_host_device_scalarIfEES2_PKS2_PKT1_S9_S6_PKfSB_S4_Pf21rocsparse_index_base_b
		.amdhsa_group_segment_fixed_size 0
		.amdhsa_private_segment_fixed_size 0
		.amdhsa_kernarg_size 352
		.amdhsa_user_sgpr_count 15
		.amdhsa_user_sgpr_dispatch_ptr 0
		.amdhsa_user_sgpr_queue_ptr 0
		.amdhsa_user_sgpr_kernarg_segment_ptr 1
		.amdhsa_user_sgpr_dispatch_id 0
		.amdhsa_user_sgpr_private_segment_size 0
		.amdhsa_wavefront_size32 1
		.amdhsa_uses_dynamic_stack 0
		.amdhsa_enable_private_segment 0
		.amdhsa_system_sgpr_workgroup_id_x 1
		.amdhsa_system_sgpr_workgroup_id_y 0
		.amdhsa_system_sgpr_workgroup_id_z 0
		.amdhsa_system_sgpr_workgroup_info 0
		.amdhsa_system_vgpr_workitem_id 1
		.amdhsa_next_free_vgpr 25
		.amdhsa_next_free_sgpr 16
		.amdhsa_reserve_vcc 1
		.amdhsa_float_round_mode_32 0
		.amdhsa_float_round_mode_16_64 0
		.amdhsa_float_denorm_mode_32 3
		.amdhsa_float_denorm_mode_16_64 3
		.amdhsa_dx10_clamp 1
		.amdhsa_ieee_mode 1
		.amdhsa_fp16_overflow 0
		.amdhsa_workgroup_processor_mode 1
		.amdhsa_memory_ordered 1
		.amdhsa_forward_progress 0
		.amdhsa_shared_vgpr_count 0
		.amdhsa_exception_fp_ieee_invalid_op 0
		.amdhsa_exception_fp_denorm_src 0
		.amdhsa_exception_fp_ieee_div_zero 0
		.amdhsa_exception_fp_ieee_overflow 0
		.amdhsa_exception_fp_ieee_underflow 0
		.amdhsa_exception_fp_ieee_inexact 0
		.amdhsa_exception_int_div_zero 0
	.end_amdhsa_kernel
	.section	.text._ZN9rocsparseL19sbsrxmvn_5x5_kernelILj256EL20rocsparse_direction_0EliEEvT2_NS_24const_host_device_scalarIfEES2_PKS2_PKT1_S9_S6_PKfSB_S4_Pf21rocsparse_index_base_b,"axG",@progbits,_ZN9rocsparseL19sbsrxmvn_5x5_kernelILj256EL20rocsparse_direction_0EliEEvT2_NS_24const_host_device_scalarIfEES2_PKS2_PKT1_S9_S6_PKfSB_S4_Pf21rocsparse_index_base_b,comdat
.Lfunc_end7:
	.size	_ZN9rocsparseL19sbsrxmvn_5x5_kernelILj256EL20rocsparse_direction_0EliEEvT2_NS_24const_host_device_scalarIfEES2_PKS2_PKT1_S9_S6_PKfSB_S4_Pf21rocsparse_index_base_b, .Lfunc_end7-_ZN9rocsparseL19sbsrxmvn_5x5_kernelILj256EL20rocsparse_direction_0EliEEvT2_NS_24const_host_device_scalarIfEES2_PKS2_PKT1_S9_S6_PKfSB_S4_Pf21rocsparse_index_base_b
                                        ; -- End function
	.section	.AMDGPU.csdata,"",@progbits
; Kernel info:
; codeLenInByte = 1500
; NumSgprs: 18
; NumVgprs: 25
; ScratchSize: 0
; MemoryBound: 0
; FloatMode: 240
; IeeeMode: 1
; LDSByteSize: 0 bytes/workgroup (compile time only)
; SGPRBlocks: 2
; VGPRBlocks: 3
; NumSGPRsForWavesPerEU: 18
; NumVGPRsForWavesPerEU: 25
; Occupancy: 16
; WaveLimiterHint : 1
; COMPUTE_PGM_RSRC2:SCRATCH_EN: 0
; COMPUTE_PGM_RSRC2:USER_SGPR: 15
; COMPUTE_PGM_RSRC2:TRAP_HANDLER: 0
; COMPUTE_PGM_RSRC2:TGID_X_EN: 1
; COMPUTE_PGM_RSRC2:TGID_Y_EN: 0
; COMPUTE_PGM_RSRC2:TGID_Z_EN: 0
; COMPUTE_PGM_RSRC2:TIDIG_COMP_CNT: 1
	.section	.text._ZN9rocsparseL19sbsrxmvn_5x5_kernelILj256EL20rocsparse_direction_1EliEEvT2_NS_24const_host_device_scalarIfEES2_PKS2_PKT1_S9_S6_PKfSB_S4_Pf21rocsparse_index_base_b,"axG",@progbits,_ZN9rocsparseL19sbsrxmvn_5x5_kernelILj256EL20rocsparse_direction_1EliEEvT2_NS_24const_host_device_scalarIfEES2_PKS2_PKT1_S9_S6_PKfSB_S4_Pf21rocsparse_index_base_b,comdat
	.globl	_ZN9rocsparseL19sbsrxmvn_5x5_kernelILj256EL20rocsparse_direction_1EliEEvT2_NS_24const_host_device_scalarIfEES2_PKS2_PKT1_S9_S6_PKfSB_S4_Pf21rocsparse_index_base_b ; -- Begin function _ZN9rocsparseL19sbsrxmvn_5x5_kernelILj256EL20rocsparse_direction_1EliEEvT2_NS_24const_host_device_scalarIfEES2_PKS2_PKT1_S9_S6_PKfSB_S4_Pf21rocsparse_index_base_b
	.p2align	8
	.type	_ZN9rocsparseL19sbsrxmvn_5x5_kernelILj256EL20rocsparse_direction_1EliEEvT2_NS_24const_host_device_scalarIfEES2_PKS2_PKT1_S9_S6_PKfSB_S4_Pf21rocsparse_index_base_b,@function
_ZN9rocsparseL19sbsrxmvn_5x5_kernelILj256EL20rocsparse_direction_1EliEEvT2_NS_24const_host_device_scalarIfEES2_PKS2_PKT1_S9_S6_PKfSB_S4_Pf21rocsparse_index_base_b: ; @_ZN9rocsparseL19sbsrxmvn_5x5_kernelILj256EL20rocsparse_direction_1EliEEvT2_NS_24const_host_device_scalarIfEES2_PKS2_PKT1_S9_S6_PKfSB_S4_Pf21rocsparse_index_base_b
; %bb.0:
	s_clause 0x2
	s_load_b64 s[12:13], s[0:1], 0x58
	s_load_b64 s[8:9], s[0:1], 0x8
	;; [unrolled: 1-line block ×3, first 2 shown]
	s_waitcnt lgkmcnt(0)
	s_bitcmp1_b32 s13, 0
	s_cselect_b32 s2, -1, 0
	s_delay_alu instid0(SALU_CYCLE_1)
	s_and_b32 vcc_lo, exec_lo, s2
	s_xor_b32 s2, s2, -1
	s_cbranch_vccnz .LBB8_2
; %bb.1:
	s_load_b32 s8, s[8:9], 0x0
.LBB8_2:
	s_and_not1_b32 vcc_lo, exec_lo, s2
	s_cbranch_vccnz .LBB8_4
; %bb.3:
	s_load_b32 s10, s[10:11], 0x0
.LBB8_4:
	s_waitcnt lgkmcnt(0)
	v_cmp_neq_f32_e64 s2, s8, 0
	v_cmp_neq_f32_e64 s3, s10, 1.0
	s_delay_alu instid0(VALU_DEP_1) | instskip(NEXT) | instid1(SALU_CYCLE_1)
	s_or_b32 s2, s2, s3
	s_and_not1_b32 vcc_lo, exec_lo, s2
	s_cbranch_vccnz .LBB8_20
; %bb.5:
	s_clause 0x1
	s_load_b32 s4, s[0:1], 0x6c
	s_load_b64 s[2:3], s[0:1], 0x18
	v_bfe_u32 v3, v0, 10, 10
	s_waitcnt lgkmcnt(0)
	s_lshr_b32 s4, s4, 16
	s_cmp_eq_u64 s[2:3], 0
	s_delay_alu instid0(VALU_DEP_1)
	v_mad_u64_u32 v[1:2], null, s15, s4, v[3:4]
	s_cbranch_scc1 .LBB8_7
; %bb.6:
	s_delay_alu instid0(VALU_DEP_1) | instskip(NEXT) | instid1(VALU_DEP_1)
	v_ashrrev_i32_e32 v2, 31, v1
	v_lshlrev_b64 v[1:2], 2, v[1:2]
	s_delay_alu instid0(VALU_DEP_1) | instskip(NEXT) | instid1(VALU_DEP_2)
	v_add_co_u32 v1, vcc_lo, s2, v1
	v_add_co_ci_u32_e32 v2, vcc_lo, s3, v2, vcc_lo
	global_load_b32 v1, v[1:2], off
	s_waitcnt vmcnt(0)
	v_subrev_nc_u32_e32 v1, s12, v1
.LBB8_7:
	s_load_b32 s2, s[0:1], 0x0
	v_and_b32_e32 v15, 0x3ff, v0
	s_waitcnt lgkmcnt(0)
	s_delay_alu instid0(VALU_DEP_2) | instskip(NEXT) | instid1(VALU_DEP_2)
	v_cmp_gt_i32_e32 vcc_lo, s2, v1
	v_cmp_gt_u32_e64 s2, 25, v15
	s_delay_alu instid0(VALU_DEP_1) | instskip(NEXT) | instid1(SALU_CYCLE_1)
	s_and_b32 s2, s2, vcc_lo
	s_and_saveexec_b32 s3, s2
	s_cbranch_execz .LBB8_20
; %bb.8:
	s_clause 0x1
	s_load_b128 s[4:7], s[0:1], 0x20
	s_load_b64 s[2:3], s[0:1], 0x50
	v_ashrrev_i32_e32 v2, 31, v1
	v_mov_b32_e32 v16, 0
	s_mov_b32 s9, exec_lo
	s_delay_alu instid0(VALU_DEP_2) | instskip(SKIP_1) | instid1(VALU_DEP_1)
	v_lshlrev_b64 v[2:3], 3, v[1:2]
	s_waitcnt lgkmcnt(0)
	v_add_co_u32 v4, vcc_lo, s4, v2
	s_delay_alu instid0(VALU_DEP_2) | instskip(SKIP_2) | instid1(VALU_DEP_4)
	v_add_co_ci_u32_e32 v5, vcc_lo, s5, v3, vcc_lo
	v_add_co_u32 v0, vcc_lo, s6, v2
	v_add_co_ci_u32_e32 v2, vcc_lo, s7, v3, vcc_lo
	v_add_co_u32 v6, vcc_lo, v4, 8
	s_delay_alu instid0(VALU_DEP_4) | instskip(SKIP_2) | instid1(VALU_DEP_1)
	v_add_co_ci_u32_e32 v3, vcc_lo, 0, v5, vcc_lo
	s_cmp_eq_u64 s[6:7], 0
	s_cselect_b32 vcc_lo, -1, 0
	v_dual_cndmask_b32 v3, v2, v3 :: v_dual_cndmask_b32 v2, v0, v6
	global_load_b64 v[9:10], v[4:5], off
	global_load_b64 v[3:4], v[2:3], off
	v_mul_u32_u24_e32 v0, 0x3334, v15
	s_delay_alu instid0(VALU_DEP_1) | instskip(NEXT) | instid1(VALU_DEP_1)
	v_lshrrev_b32_e32 v2, 16, v0
	v_mul_lo_u16 v0, v2, 5
	s_delay_alu instid0(VALU_DEP_1) | instskip(NEXT) | instid1(VALU_DEP_1)
	v_sub_nc_u16 v0, v15, v0
	v_and_b32_e32 v0, 0xffff, v0
	s_waitcnt vmcnt(0)
	v_cmpx_lt_i64_e64 v[9:10], v[3:4]
	s_cbranch_execz .LBB8_18
; %bb.9:
	v_sub_co_u32 v3, vcc_lo, v3, s12
	v_subrev_co_ci_u32_e32 v4, vcc_lo, 0, v4, vcc_lo
	v_sub_co_u32 v5, vcc_lo, v9, s12
	v_subrev_co_ci_u32_e32 v6, vcc_lo, 0, v10, vcc_lo
	s_clause 0x1
	s_load_b128 s[4:7], s[0:1], 0x30
	s_load_b64 s[14:15], s[0:1], 0x40
	v_add_co_u32 v11, vcc_lo, v5, 1
	v_add_co_ci_u32_e32 v12, vcc_lo, 0, v6, vcc_lo
	v_mov_b32_e32 v16, 0
	s_mov_b32 s13, 0
	s_mov_b32 s1, exec_lo
	s_delay_alu instid0(VALU_DEP_2) | instskip(SKIP_1) | instid1(VALU_DEP_1)
	v_cmp_gt_i64_e32 vcc_lo, v[11:12], v[3:4]
	v_dual_cndmask_b32 v11, v3, v11 :: v_dual_and_b32 v2, 0xffff, v2
	v_mul_u32_u24_e32 v7, 5, v2
	v_cndmask_b32_e32 v12, v4, v12, vcc_lo
	s_delay_alu instid0(VALU_DEP_3) | instskip(NEXT) | instid1(VALU_DEP_3)
	v_add_co_u32 v17, vcc_lo, v11, s12
	v_add_lshl_u32 v7, v7, v0, 2
	s_delay_alu instid0(VALU_DEP_2) | instskip(SKIP_1) | instid1(VALU_DEP_2)
	v_sub_nc_u32_e32 v11, v17, v9
	s_waitcnt lgkmcnt(0)
	v_add_co_u32 v13, s0, s6, v7
	s_delay_alu instid0(VALU_DEP_1) | instskip(NEXT) | instid1(VALU_DEP_3)
	v_add_co_ci_u32_e64 v14, null, s7, 0, s0
	v_and_b32_e32 v11, 3, v11
	v_add_co_ci_u32_e32 v18, vcc_lo, 0, v12, vcc_lo
	s_delay_alu instid0(VALU_DEP_3) | instskip(NEXT) | instid1(VALU_DEP_1)
	v_mad_u64_u32 v[7:8], null, 0x64, v5, v[13:14]
	v_mad_u64_u32 v[12:13], null, 0x64, v6, v[8:9]
	s_delay_alu instid0(VALU_DEP_1)
	v_mov_b32_e32 v8, v12
	v_cmpx_ne_u32_e32 0, v11
	s_cbranch_execz .LBB8_13
; %bb.10:
	v_lshlrev_b64 v[13:14], 2, v[9:10]
	s_lshl_b64 s[6:7], s[12:13], 2
	v_mul_hi_u32_u24_e32 v12, 25, v11
	v_mul_u32_u24_e32 v11, 25, v11
	v_mov_b32_e32 v16, 0
	s_delay_alu instid0(VALU_DEP_4) | instskip(SKIP_1) | instid1(VALU_DEP_2)
	v_sub_co_u32 v13, vcc_lo, v13, s6
	v_subrev_co_ci_u32_e32 v14, vcc_lo, s7, v14, vcc_lo
	v_add_co_u32 v13, vcc_lo, s4, v13
	s_delay_alu instid0(VALU_DEP_2)
	v_add_co_ci_u32_e32 v14, vcc_lo, s5, v14, vcc_lo
	s_set_inst_prefetch_distance 0x1
	.p2align	6
.LBB8_11:                               ; =>This Inner Loop Header: Depth=1
	global_load_b32 v19, v[13:14], off
	v_add_co_u32 v13, s0, v13, 4
	s_delay_alu instid0(VALU_DEP_1) | instskip(SKIP_2) | instid1(VALU_DEP_1)
	v_add_co_ci_u32_e64 v14, s0, 0, v14, s0
	s_waitcnt vmcnt(0)
	v_subrev_nc_u32_e32 v21, s12, v19
	v_mad_u64_u32 v[19:20], null, v21, 5, v[2:3]
	s_delay_alu instid0(VALU_DEP_1) | instskip(NEXT) | instid1(VALU_DEP_1)
	v_ashrrev_i32_e32 v20, 31, v19
	v_lshlrev_b64 v[19:20], 2, v[19:20]
	s_delay_alu instid0(VALU_DEP_1) | instskip(NEXT) | instid1(VALU_DEP_2)
	v_add_co_u32 v19, vcc_lo, s14, v19
	v_add_co_ci_u32_e32 v20, vcc_lo, s15, v20, vcc_lo
	global_load_b32 v21, v[7:8], off
	global_load_b32 v19, v[19:20], off
	v_add_co_u32 v7, vcc_lo, 0x64, v7
	v_add_co_ci_u32_e32 v8, vcc_lo, 0, v8, vcc_lo
	v_add_co_u32 v11, vcc_lo, 0xffffffe7, v11
	v_add_co_ci_u32_e32 v12, vcc_lo, -1, v12, vcc_lo
	v_add_co_u32 v5, vcc_lo, v5, 1
	v_add_co_ci_u32_e32 v6, vcc_lo, 0, v6, vcc_lo
	s_delay_alu instid0(VALU_DEP_3)
	v_cmp_eq_u64_e32 vcc_lo, 0, v[11:12]
	s_or_b32 s13, vcc_lo, s13
	s_waitcnt vmcnt(0)
	v_fmac_f32_e32 v16, v21, v19
	s_and_not1_b32 exec_lo, exec_lo, s13
	s_cbranch_execnz .LBB8_11
; %bb.12:
	s_set_inst_prefetch_distance 0x2
	s_or_b32 exec_lo, exec_lo, s13
.LBB8_13:
	s_delay_alu instid0(SALU_CYCLE_1) | instskip(SKIP_3) | instid1(VALU_DEP_1)
	s_or_b32 exec_lo, exec_lo, s1
	v_sub_co_u32 v9, vcc_lo, v9, v17
	v_sub_co_ci_u32_e32 v10, vcc_lo, v10, v18, vcc_lo
	s_mov_b32 s1, exec_lo
	v_cmpx_gt_u64_e32 -3, v[9:10]
	s_cbranch_execz .LBB8_17
; %bb.14:
	v_lshlrev_b64 v[9:10], 2, v[5:6]
	s_delay_alu instid0(VALU_DEP_1) | instskip(NEXT) | instid1(VALU_DEP_2)
	v_add_co_u32 v9, vcc_lo, v9, s4
	v_add_co_ci_u32_e32 v10, vcc_lo, s5, v10, vcc_lo
	s_mov_b32 s4, 0
	s_delay_alu instid0(VALU_DEP_2) | instskip(NEXT) | instid1(VALU_DEP_2)
	v_add_co_u32 v9, vcc_lo, v9, 8
	v_add_co_ci_u32_e32 v10, vcc_lo, 0, v10, vcc_lo
.LBB8_15:                               ; =>This Inner Loop Header: Depth=1
	global_load_b128 v[11:14], v[9:10], off offset:-8
	s_clause 0x2
	global_load_b32 v21, v[7:8], off
	global_load_b32 v22, v[7:8], off offset:100
	global_load_b32 v23, v[7:8], off offset:200
	v_add_co_u32 v9, s0, v9, 16
	s_delay_alu instid0(VALU_DEP_1)
	v_add_co_ci_u32_e64 v10, s0, 0, v10, s0
	s_waitcnt vmcnt(3)
	v_subrev_nc_u32_e32 v17, s12, v11
	v_subrev_nc_u32_e32 v18, s12, v12
	;; [unrolled: 1-line block ×4, first 2 shown]
	s_delay_alu instid0(VALU_DEP_4) | instskip(NEXT) | instid1(VALU_DEP_4)
	v_mad_u64_u32 v[11:12], null, v17, 5, v[2:3]
	v_mad_u64_u32 v[13:14], null, v18, 5, v[2:3]
	s_delay_alu instid0(VALU_DEP_4) | instskip(NEXT) | instid1(VALU_DEP_4)
	v_mad_u64_u32 v[17:18], null, v19, 5, v[2:3]
	v_mad_u64_u32 v[19:20], null, v24, 5, v[2:3]
	s_delay_alu instid0(VALU_DEP_4) | instskip(NEXT) | instid1(VALU_DEP_4)
	v_ashrrev_i32_e32 v12, 31, v11
	v_ashrrev_i32_e32 v14, 31, v13
	s_delay_alu instid0(VALU_DEP_4) | instskip(NEXT) | instid1(VALU_DEP_3)
	v_ashrrev_i32_e32 v18, 31, v17
	v_lshlrev_b64 v[11:12], 2, v[11:12]
	v_ashrrev_i32_e32 v20, 31, v19
	s_delay_alu instid0(VALU_DEP_4) | instskip(NEXT) | instid1(VALU_DEP_4)
	v_lshlrev_b64 v[13:14], 2, v[13:14]
	v_lshlrev_b64 v[17:18], 2, v[17:18]
	s_delay_alu instid0(VALU_DEP_3)
	v_lshlrev_b64 v[19:20], 2, v[19:20]
	v_add_co_u32 v11, vcc_lo, s14, v11
	v_add_co_ci_u32_e32 v12, vcc_lo, s15, v12, vcc_lo
	v_add_co_u32 v13, vcc_lo, s14, v13
	v_add_co_ci_u32_e32 v14, vcc_lo, s15, v14, vcc_lo
	global_load_b32 v24, v[11:12], off
	v_add_co_u32 v11, vcc_lo, s14, v17
	global_load_b32 v17, v[13:14], off
	v_add_co_ci_u32_e32 v12, vcc_lo, s15, v18, vcc_lo
	v_add_co_u32 v13, vcc_lo, s14, v19
	v_add_co_ci_u32_e32 v14, vcc_lo, s15, v20, vcc_lo
	global_load_b32 v11, v[11:12], off
	global_load_b32 v12, v[7:8], off offset:300
	global_load_b32 v13, v[13:14], off
	v_add_co_u32 v5, vcc_lo, v5, 4
	v_add_co_ci_u32_e32 v6, vcc_lo, 0, v6, vcc_lo
	v_add_co_u32 v7, vcc_lo, 0x190, v7
	v_add_co_ci_u32_e32 v8, vcc_lo, 0, v8, vcc_lo
	s_delay_alu instid0(VALU_DEP_3) | instskip(SKIP_4) | instid1(VALU_DEP_1)
	v_cmp_ge_i64_e32 vcc_lo, v[5:6], v[3:4]
	s_or_b32 s4, vcc_lo, s4
	s_waitcnt vmcnt(4)
	v_fmac_f32_e32 v16, v21, v24
	s_waitcnt vmcnt(3)
	v_fmac_f32_e32 v16, v22, v17
	s_waitcnt vmcnt(2)
	s_delay_alu instid0(VALU_DEP_1) | instskip(SKIP_1) | instid1(VALU_DEP_1)
	v_fmac_f32_e32 v16, v23, v11
	s_waitcnt vmcnt(0)
	v_fmac_f32_e32 v16, v12, v13
	s_and_not1_b32 exec_lo, exec_lo, s4
	s_cbranch_execnz .LBB8_15
; %bb.16:
	s_or_b32 exec_lo, exec_lo, s4
.LBB8_17:
	s_delay_alu instid0(SALU_CYCLE_1)
	s_or_b32 exec_lo, exec_lo, s1
.LBB8_18:
	s_delay_alu instid0(SALU_CYCLE_1)
	s_or_b32 exec_lo, exec_lo, s9
	v_lshlrev_b32_e32 v5, 2, v0
	v_cmp_gt_u32_e32 vcc_lo, 5, v15
	ds_bpermute_b32 v2, v5, v16 offset:20
	ds_bpermute_b32 v3, v5, v16 offset:40
	;; [unrolled: 1-line block ×4, first 2 shown]
	s_and_b32 exec_lo, exec_lo, vcc_lo
	s_cbranch_execz .LBB8_20
; %bb.19:
	v_mad_u64_u32 v[6:7], null, v1, 5, v[0:1]
	s_waitcnt lgkmcnt(3)
	v_add_f32_e32 v2, v16, v2
	s_delay_alu instid0(VALU_DEP_2) | instskip(NEXT) | instid1(VALU_DEP_1)
	v_ashrrev_i32_e32 v7, 31, v6
	v_lshlrev_b64 v[0:1], 2, v[6:7]
	s_delay_alu instid0(VALU_DEP_1) | instskip(NEXT) | instid1(VALU_DEP_2)
	v_add_co_u32 v0, vcc_lo, s2, v0
	v_add_co_ci_u32_e32 v1, vcc_lo, s3, v1, vcc_lo
	global_load_b32 v6, v[0:1], off
	s_waitcnt vmcnt(0) lgkmcnt(2)
	v_dual_add_f32 v2, v2, v3 :: v_dual_mul_f32 v3, s10, v6
	s_waitcnt lgkmcnt(1)
	s_delay_alu instid0(VALU_DEP_1) | instskip(SKIP_1) | instid1(VALU_DEP_1)
	v_add_f32_e32 v2, v2, v4
	s_waitcnt lgkmcnt(0)
	v_add_f32_e32 v2, v2, v5
	s_delay_alu instid0(VALU_DEP_1)
	v_fmac_f32_e32 v3, s8, v2
	global_store_b32 v[0:1], v3, off
.LBB8_20:
	s_nop 0
	s_sendmsg sendmsg(MSG_DEALLOC_VGPRS)
	s_endpgm
	.section	.rodata,"a",@progbits
	.p2align	6, 0x0
	.amdhsa_kernel _ZN9rocsparseL19sbsrxmvn_5x5_kernelILj256EL20rocsparse_direction_1EliEEvT2_NS_24const_host_device_scalarIfEES2_PKS2_PKT1_S9_S6_PKfSB_S4_Pf21rocsparse_index_base_b
		.amdhsa_group_segment_fixed_size 0
		.amdhsa_private_segment_fixed_size 0
		.amdhsa_kernarg_size 352
		.amdhsa_user_sgpr_count 15
		.amdhsa_user_sgpr_dispatch_ptr 0
		.amdhsa_user_sgpr_queue_ptr 0
		.amdhsa_user_sgpr_kernarg_segment_ptr 1
		.amdhsa_user_sgpr_dispatch_id 0
		.amdhsa_user_sgpr_private_segment_size 0
		.amdhsa_wavefront_size32 1
		.amdhsa_uses_dynamic_stack 0
		.amdhsa_enable_private_segment 0
		.amdhsa_system_sgpr_workgroup_id_x 1
		.amdhsa_system_sgpr_workgroup_id_y 0
		.amdhsa_system_sgpr_workgroup_id_z 0
		.amdhsa_system_sgpr_workgroup_info 0
		.amdhsa_system_vgpr_workitem_id 1
		.amdhsa_next_free_vgpr 25
		.amdhsa_next_free_sgpr 16
		.amdhsa_reserve_vcc 1
		.amdhsa_float_round_mode_32 0
		.amdhsa_float_round_mode_16_64 0
		.amdhsa_float_denorm_mode_32 3
		.amdhsa_float_denorm_mode_16_64 3
		.amdhsa_dx10_clamp 1
		.amdhsa_ieee_mode 1
		.amdhsa_fp16_overflow 0
		.amdhsa_workgroup_processor_mode 1
		.amdhsa_memory_ordered 1
		.amdhsa_forward_progress 0
		.amdhsa_shared_vgpr_count 0
		.amdhsa_exception_fp_ieee_invalid_op 0
		.amdhsa_exception_fp_denorm_src 0
		.amdhsa_exception_fp_ieee_div_zero 0
		.amdhsa_exception_fp_ieee_overflow 0
		.amdhsa_exception_fp_ieee_underflow 0
		.amdhsa_exception_fp_ieee_inexact 0
		.amdhsa_exception_int_div_zero 0
	.end_amdhsa_kernel
	.section	.text._ZN9rocsparseL19sbsrxmvn_5x5_kernelILj256EL20rocsparse_direction_1EliEEvT2_NS_24const_host_device_scalarIfEES2_PKS2_PKT1_S9_S6_PKfSB_S4_Pf21rocsparse_index_base_b,"axG",@progbits,_ZN9rocsparseL19sbsrxmvn_5x5_kernelILj256EL20rocsparse_direction_1EliEEvT2_NS_24const_host_device_scalarIfEES2_PKS2_PKT1_S9_S6_PKfSB_S4_Pf21rocsparse_index_base_b,comdat
.Lfunc_end8:
	.size	_ZN9rocsparseL19sbsrxmvn_5x5_kernelILj256EL20rocsparse_direction_1EliEEvT2_NS_24const_host_device_scalarIfEES2_PKS2_PKT1_S9_S6_PKfSB_S4_Pf21rocsparse_index_base_b, .Lfunc_end8-_ZN9rocsparseL19sbsrxmvn_5x5_kernelILj256EL20rocsparse_direction_1EliEEvT2_NS_24const_host_device_scalarIfEES2_PKS2_PKT1_S9_S6_PKfSB_S4_Pf21rocsparse_index_base_b
                                        ; -- End function
	.section	.AMDGPU.csdata,"",@progbits
; Kernel info:
; codeLenInByte = 1500
; NumSgprs: 18
; NumVgprs: 25
; ScratchSize: 0
; MemoryBound: 0
; FloatMode: 240
; IeeeMode: 1
; LDSByteSize: 0 bytes/workgroup (compile time only)
; SGPRBlocks: 2
; VGPRBlocks: 3
; NumSGPRsForWavesPerEU: 18
; NumVGPRsForWavesPerEU: 25
; Occupancy: 16
; WaveLimiterHint : 1
; COMPUTE_PGM_RSRC2:SCRATCH_EN: 0
; COMPUTE_PGM_RSRC2:USER_SGPR: 15
; COMPUTE_PGM_RSRC2:TRAP_HANDLER: 0
; COMPUTE_PGM_RSRC2:TGID_X_EN: 1
; COMPUTE_PGM_RSRC2:TGID_Y_EN: 0
; COMPUTE_PGM_RSRC2:TGID_Z_EN: 0
; COMPUTE_PGM_RSRC2:TIDIG_COMP_CNT: 1
	.section	.text._ZN9rocsparseL18bsrxmvn_5x5_kernelILj50EdlidddEEvT2_20rocsparse_direction_NS_24const_host_device_scalarIT0_EES1_PKS1_PKT1_SA_S7_PKT3_PKT4_S5_PT5_21rocsparse_index_base_b,"axG",@progbits,_ZN9rocsparseL18bsrxmvn_5x5_kernelILj50EdlidddEEvT2_20rocsparse_direction_NS_24const_host_device_scalarIT0_EES1_PKS1_PKT1_SA_S7_PKT3_PKT4_S5_PT5_21rocsparse_index_base_b,comdat
	.globl	_ZN9rocsparseL18bsrxmvn_5x5_kernelILj50EdlidddEEvT2_20rocsparse_direction_NS_24const_host_device_scalarIT0_EES1_PKS1_PKT1_SA_S7_PKT3_PKT4_S5_PT5_21rocsparse_index_base_b ; -- Begin function _ZN9rocsparseL18bsrxmvn_5x5_kernelILj50EdlidddEEvT2_20rocsparse_direction_NS_24const_host_device_scalarIT0_EES1_PKS1_PKT1_SA_S7_PKT3_PKT4_S5_PT5_21rocsparse_index_base_b
	.p2align	8
	.type	_ZN9rocsparseL18bsrxmvn_5x5_kernelILj50EdlidddEEvT2_20rocsparse_direction_NS_24const_host_device_scalarIT0_EES1_PKS1_PKT1_SA_S7_PKT3_PKT4_S5_PT5_21rocsparse_index_base_b,@function
_ZN9rocsparseL18bsrxmvn_5x5_kernelILj50EdlidddEEvT2_20rocsparse_direction_NS_24const_host_device_scalarIT0_EES1_PKS1_PKT1_SA_S7_PKT3_PKT4_S5_PT5_21rocsparse_index_base_b: ; @_ZN9rocsparseL18bsrxmvn_5x5_kernelILj50EdlidddEEvT2_20rocsparse_direction_NS_24const_host_device_scalarIT0_EES1_PKS1_PKT1_SA_S7_PKT3_PKT4_S5_PT5_21rocsparse_index_base_b
; %bb.0:
	s_clause 0x2
	s_load_b64 s[10:11], s[0:1], 0x58
	s_load_b64 s[4:5], s[0:1], 0x8
	;; [unrolled: 1-line block ×3, first 2 shown]
	s_mov_b32 s8, s15
	s_waitcnt lgkmcnt(0)
	s_bitcmp1_b32 s11, 0
	v_dual_mov_b32 v3, s4 :: v_dual_mov_b32 v4, s5
	s_cselect_b32 s6, -1, 0
	s_delay_alu instid0(SALU_CYCLE_1)
	s_and_b32 vcc_lo, exec_lo, s6
	s_xor_b32 s6, s6, -1
	s_cbranch_vccnz .LBB9_2
; %bb.1:
	v_dual_mov_b32 v1, s4 :: v_dual_mov_b32 v2, s5
	flat_load_b64 v[3:4], v[1:2]
.LBB9_2:
	v_dual_mov_b32 v1, s2 :: v_dual_mov_b32 v2, s3
	s_and_not1_b32 vcc_lo, exec_lo, s6
	s_cbranch_vccnz .LBB9_4
; %bb.3:
	v_dual_mov_b32 v1, s2 :: v_dual_mov_b32 v2, s3
	flat_load_b64 v[1:2], v[1:2]
.LBB9_4:
	s_waitcnt vmcnt(0) lgkmcnt(0)
	v_cmp_neq_f64_e32 vcc_lo, 0, v[3:4]
	v_cmp_neq_f64_e64 s2, 1.0, v[1:2]
	s_delay_alu instid0(VALU_DEP_1) | instskip(NEXT) | instid1(SALU_CYCLE_1)
	s_or_b32 s2, vcc_lo, s2
	s_and_saveexec_b32 s3, s2
	s_cbranch_execz .LBB9_34
; %bb.5:
	s_clause 0x1
	s_load_b128 s[4:7], s[0:1], 0x18
	s_load_b64 s[12:13], s[0:1], 0x28
	s_waitcnt lgkmcnt(0)
	s_cmp_eq_u64 s[4:5], 0
	s_cbranch_scc1 .LBB9_7
; %bb.6:
	s_ashr_i32 s9, s8, 31
	s_delay_alu instid0(SALU_CYCLE_1) | instskip(NEXT) | instid1(SALU_CYCLE_1)
	s_lshl_b64 s[2:3], s[8:9], 2
	s_add_u32 s2, s4, s2
	s_addc_u32 s3, s5, s3
	s_load_b32 s2, s[2:3], 0x0
	s_waitcnt lgkmcnt(0)
	s_sub_i32 s8, s2, s10
.LBB9_7:
	s_load_b32 s3, s[0:1], 0x4
	v_mul_u32_u24_e32 v5, 0x3334, v0
	v_lshlrev_b32_e32 v12, 3, v0
	s_delay_alu instid0(VALU_DEP_2) | instskip(SKIP_2) | instid1(VALU_DEP_3)
	v_lshrrev_b32_e32 v7, 16, v5
	v_mov_b32_e32 v5, 0
	v_mov_b32_e32 v6, 0
	v_mul_lo_u16 v8, v7, 5
	s_delay_alu instid0(VALU_DEP_1)
	v_sub_nc_u16 v13, v0, v8
	s_waitcnt lgkmcnt(0)
	s_cmp_eq_u32 s3, 1
	s_cselect_b32 s2, -1, 0
	s_cmp_lg_u32 s3, 1
	s_cselect_b32 s11, -1, 0
	s_ashr_i32 s9, s8, 31
	s_delay_alu instid0(SALU_CYCLE_1) | instskip(NEXT) | instid1(SALU_CYCLE_1)
	s_lshl_b64 s[4:5], s[8:9], 3
	s_add_u32 s6, s6, s4
	s_addc_u32 s7, s7, s5
	s_add_u32 s3, s6, 8
	s_addc_u32 s9, s7, 0
	;; [unrolled: 2-line block ×3, first 2 shown]
	s_cmp_eq_u64 s[12:13], 0
	s_cselect_b32 s5, s9, s5
	s_cselect_b32 s4, s3, s4
	s_load_b64 s[12:13], s[6:7], 0x0
	s_load_b64 s[6:7], s[4:5], 0x0
	;; [unrolled: 1-line block ×3, first 2 shown]
	s_waitcnt lgkmcnt(0)
	v_cmp_ge_i64_e64 s3, s[12:13], s[6:7]
	s_delay_alu instid0(VALU_DEP_1)
	s_and_b32 vcc_lo, exec_lo, s3
	s_cbranch_vccnz .LBB9_12
; %bb.8:
	v_mul_lo_u16 v8, v7, 52
	v_dual_mov_b32 v6, 0 :: v_dual_lshlrev_b32 v5, 3, v0
	s_clause 0x1
	s_load_b128 s[16:19], s[0:1], 0x30
	s_load_b64 s[0:1], s[0:1], 0x40
	v_and_b32_e32 v11, 0xffff, v13
	v_lshrrev_b16 v10, 8, v8
	s_mul_i32 s9, s10, 0xc8
	v_mad_u64_u32 v[8:9], null, 0xc8, s12, v[5:6]
	v_and_b32_e32 v5, 0xffff, v0
	s_delay_alu instid0(VALU_DEP_3) | instskip(SKIP_4) | instid1(VALU_DEP_4)
	v_mul_lo_u16 v6, v10, 5
	s_mul_hi_u32 s3, s10, 0xc8
	s_sub_u32 s6, s6, s10
	s_subb_u32 s7, s7, 0
	v_mul_u32_u24_e32 v10, 0xa3e, v5
	v_mov_b32_e32 v5, v9
	v_sub_nc_u16 v9, v7, v6
	s_delay_alu instid0(VALU_DEP_3) | instskip(NEXT) | instid1(VALU_DEP_3)
	v_lshrrev_b32_e32 v14, 16, v10
	v_mad_u64_u32 v[6:7], null, 0xc8, s13, v[5:6]
	s_delay_alu instid0(VALU_DEP_3) | instskip(NEXT) | instid1(VALU_DEP_3)
	v_and_b32_e32 v5, 0xff, v9
	v_add_co_u32 v9, s14, s12, v14
	s_delay_alu instid0(VALU_DEP_1) | instskip(NEXT) | instid1(VALU_DEP_3)
	v_add_co_ci_u32_e64 v10, null, s13, 0, s14
	v_cndmask_b32_e64 v7, v11, v5, s2
	s_delay_alu instid0(VALU_DEP_3) | instskip(SKIP_1) | instid1(VALU_DEP_4)
	v_sub_co_u32 v5, vcc_lo, v9, s10
	v_mov_b32_e32 v11, v6
	v_subrev_co_ci_u32_e32 v6, vcc_lo, 0, v10, vcc_lo
	v_sub_co_u32 v8, vcc_lo, v8, s9
	s_delay_alu instid0(VALU_DEP_3) | instskip(NEXT) | instid1(VALU_DEP_3)
	v_subrev_co_ci_u32_e32 v9, vcc_lo, s3, v11, vcc_lo
	v_lshlrev_b64 v[10:11], 2, v[5:6]
	s_waitcnt lgkmcnt(0)
	s_delay_alu instid0(VALU_DEP_3) | instskip(NEXT) | instid1(VALU_DEP_3)
	v_add_co_u32 v8, vcc_lo, s18, v8
	v_add_co_ci_u32_e32 v9, vcc_lo, s19, v9, vcc_lo
	v_mov_b32_e32 v5, 0
	v_mov_b32_e32 v6, 0
	v_add_co_u32 v10, vcc_lo, s16, v10
	v_add_co_ci_u32_e32 v11, vcc_lo, s17, v11, vcc_lo
	s_sub_u32 s2, s12, s10
	s_subb_u32 s3, s13, 0
	s_set_inst_prefetch_distance 0x1
	s_branch .LBB9_10
	.p2align	6
.LBB9_9:                                ;   in Loop: Header=BB9_10 Depth=1
	s_or_b32 exec_lo, exec_lo, s9
	s_add_u32 s2, s2, 2
	s_addc_u32 s3, s3, 0
	v_add_co_u32 v8, vcc_lo, 0x190, v8
	v_cmp_ge_i64_e64 s9, s[2:3], s[6:7]
	v_add_co_ci_u32_e32 v9, vcc_lo, 0, v9, vcc_lo
	v_add_co_u32 v10, vcc_lo, v10, 8
	v_add_co_ci_u32_e32 v11, vcc_lo, 0, v11, vcc_lo
	s_delay_alu instid0(VALU_DEP_4)
	s_and_b32 vcc_lo, exec_lo, s9
	s_cbranch_vccnz .LBB9_12
.LBB9_10:                               ; =>This Inner Loop Header: Depth=1
	v_add_co_u32 v15, s9, v14, s2
	s_delay_alu instid0(VALU_DEP_1) | instskip(SKIP_1) | instid1(VALU_DEP_1)
	v_add_co_ci_u32_e64 v16, null, 0, s3, s9
	s_mov_b32 s9, exec_lo
	v_cmpx_gt_i64_e64 s[6:7], v[15:16]
	s_cbranch_execz .LBB9_9
; %bb.11:                               ;   in Loop: Header=BB9_10 Depth=1
	global_load_b32 v15, v[10:11], off
	s_waitcnt vmcnt(0)
	v_subrev_nc_u32_e32 v17, s10, v15
	s_delay_alu instid0(VALU_DEP_1) | instskip(NEXT) | instid1(VALU_DEP_1)
	v_mad_u64_u32 v[15:16], null, v17, 5, v[7:8]
	v_ashrrev_i32_e32 v16, 31, v15
	s_delay_alu instid0(VALU_DEP_1) | instskip(NEXT) | instid1(VALU_DEP_1)
	v_lshlrev_b64 v[15:16], 3, v[15:16]
	v_add_co_u32 v15, vcc_lo, s0, v15
	s_delay_alu instid0(VALU_DEP_2)
	v_add_co_ci_u32_e32 v16, vcc_lo, s1, v16, vcc_lo
	global_load_b64 v[17:18], v[8:9], off
	global_load_b64 v[15:16], v[15:16], off
	s_waitcnt vmcnt(0)
	v_fma_f64 v[5:6], v[17:18], v[15:16], v[5:6]
	s_branch .LBB9_9
.LBB9_12:
	s_set_inst_prefetch_distance 0x2
	s_and_b32 vcc_lo, exec_lo, s11
	ds_store_b64 v12, v[5:6]
	s_waitcnt lgkmcnt(0)
	buffer_gl0_inv
	s_cbranch_vccz .LBB9_22
; %bb.13:
	s_mov_b32 s0, exec_lo
	v_cmpx_gt_u32_e32 25, v0
	s_cbranch_execz .LBB9_15
; %bb.14:
	ds_load_2addr_b64 v[7:10], v12 offset1:25
	s_waitcnt lgkmcnt(0)
	v_add_f64 v[7:8], v[9:10], v[7:8]
	ds_store_b64 v12, v[7:8]
.LBB9_15:
	s_or_b32 exec_lo, exec_lo, s0
	s_delay_alu instid0(SALU_CYCLE_1)
	s_mov_b32 s0, exec_lo
	s_waitcnt lgkmcnt(0)
	buffer_gl0_inv
	v_cmpx_eq_u16_e32 0, v13
	s_cbranch_execz .LBB9_17
; %bb.16:
	ds_load_2addr_b64 v[7:10], v12 offset1:4
	s_waitcnt lgkmcnt(0)
	v_add_f64 v[7:8], v[9:10], v[7:8]
	ds_store_b64 v12, v[7:8]
.LBB9_17:
	s_or_b32 exec_lo, exec_lo, s0
	s_delay_alu instid0(SALU_CYCLE_1)
	s_mov_b32 s0, exec_lo
	s_waitcnt lgkmcnt(0)
	buffer_gl0_inv
	v_cmpx_gt_u16_e32 2, v13
	s_cbranch_execz .LBB9_19
; %bb.18:
	ds_load_2addr_b64 v[7:10], v12 offset1:2
	s_waitcnt lgkmcnt(0)
	v_add_f64 v[7:8], v[9:10], v[7:8]
	ds_store_b64 v12, v[7:8]
.LBB9_19:
	s_or_b32 exec_lo, exec_lo, s0
	s_mov_b32 s0, 0
	s_mov_b32 s1, 0
	s_mov_b32 s2, exec_lo
	s_waitcnt lgkmcnt(0)
	buffer_gl0_inv
                                        ; implicit-def: $vgpr7
                                        ; implicit-def: $vgpr8
	v_cmpx_gt_u32_e32 5, v0
	s_xor_b32 s2, exec_lo, s2
; %bb.20:
	v_mad_u32_u24 v7, v0, 5, 1
	v_lshl_add_u32 v8, v0, 5, v12
	s_mov_b32 s1, exec_lo
; %bb.21:
	s_or_b32 exec_lo, exec_lo, s2
	s_delay_alu instid0(SALU_CYCLE_1)
	s_and_b32 vcc_lo, exec_lo, s0
	s_cbranch_vccnz .LBB9_23
	s_branch .LBB9_32
.LBB9_22:
	s_mov_b32 s1, 0
                                        ; implicit-def: $vgpr7
                                        ; implicit-def: $vgpr8
	s_cbranch_execz .LBB9_32
.LBB9_23:
	v_cmp_gt_u32_e32 vcc_lo, 10, v0
	s_and_saveexec_b32 s0, vcc_lo
	s_cbranch_execz .LBB9_25
; %bb.24:
	ds_load_2addr_b64 v[7:10], v12 offset1:40
	s_waitcnt lgkmcnt(0)
	v_add_f64 v[7:8], v[9:10], v[7:8]
	ds_store_b64 v12, v[7:8]
.LBB9_25:
	s_or_b32 exec_lo, exec_lo, s0
	s_delay_alu instid0(SALU_CYCLE_1)
	s_mov_b32 s2, exec_lo
	s_waitcnt lgkmcnt(0)
	buffer_gl0_inv
	v_cmpx_gt_u32_e32 20, v0
	s_cbranch_execz .LBB9_27
; %bb.26:
	ds_load_2addr_b64 v[7:10], v12 offset1:20
	s_waitcnt lgkmcnt(0)
	v_add_f64 v[7:8], v[9:10], v[7:8]
	ds_store_b64 v12, v[7:8]
.LBB9_27:
	s_or_b32 exec_lo, exec_lo, s2
	s_waitcnt lgkmcnt(0)
	buffer_gl0_inv
	s_and_saveexec_b32 s0, vcc_lo
	s_cbranch_execz .LBB9_29
; %bb.28:
	ds_load_2addr_b64 v[7:10], v12 offset1:10
	s_waitcnt lgkmcnt(0)
	v_add_f64 v[7:8], v[9:10], v[7:8]
	ds_store_b64 v12, v[7:8]
.LBB9_29:
	s_or_b32 exec_lo, exec_lo, s0
	s_delay_alu instid0(SALU_CYCLE_1)
	s_mov_b32 s0, exec_lo
	s_waitcnt lgkmcnt(0)
	buffer_gl0_inv
                                        ; implicit-def: $vgpr7
	v_cmpx_gt_u32_e32 5, v0
; %bb.30:
	v_add_nc_u32_e32 v7, 5, v0
	s_or_b32 s1, s1, exec_lo
                                        ; implicit-def: $vgpr5_vgpr6
; %bb.31:
	s_or_b32 exec_lo, exec_lo, s0
	v_mov_b32_e32 v8, v12
.LBB9_32:
	s_and_saveexec_b32 s0, s1
	s_cbranch_execnz .LBB9_35
; %bb.33:
	s_or_b32 exec_lo, exec_lo, s0
	v_cmp_gt_u32_e32 vcc_lo, 5, v0
	s_and_b32 exec_lo, exec_lo, vcc_lo
	s_cbranch_execnz .LBB9_36
.LBB9_34:
	s_nop 0
	s_sendmsg sendmsg(MSG_DEALLOC_VGPRS)
	s_endpgm
.LBB9_35:
	v_lshlrev_b32_e32 v7, 3, v7
	ds_load_b64 v[5:6], v8
	ds_load_b64 v[7:8], v7
	s_waitcnt lgkmcnt(0)
	v_add_f64 v[5:6], v[5:6], v[7:8]
	s_or_b32 exec_lo, exec_lo, s0
	v_cmp_gt_u32_e32 vcc_lo, 5, v0
	s_and_b32 exec_lo, exec_lo, vcc_lo
	s_cbranch_execz .LBB9_34
.LBB9_36:
	s_delay_alu instid0(VALU_DEP_2)
	v_mul_f64 v[3:4], v[3:4], v[5:6]
	s_mov_b32 s0, exec_lo
	v_cmpx_eq_f64_e32 0, v[1:2]
	s_xor_b32 s0, exec_lo, s0
	s_cbranch_execz .LBB9_38
; %bb.37:
	v_mad_u64_u32 v[1:2], null, s8, 5, v[0:1]
	v_mov_b32_e32 v2, 0
	s_delay_alu instid0(VALU_DEP_1) | instskip(NEXT) | instid1(VALU_DEP_1)
	v_lshlrev_b64 v[0:1], 3, v[1:2]
	v_add_co_u32 v0, vcc_lo, s4, v0
	s_delay_alu instid0(VALU_DEP_2)
	v_add_co_ci_u32_e32 v1, vcc_lo, s5, v1, vcc_lo
	global_store_b64 v[0:1], v[3:4], off
                                        ; implicit-def: $vgpr0
                                        ; implicit-def: $vgpr1_vgpr2
                                        ; implicit-def: $vgpr3_vgpr4
.LBB9_38:
	s_and_not1_saveexec_b32 s0, s0
	s_cbranch_execz .LBB9_34
; %bb.39:
	v_mad_u64_u32 v[5:6], null, s8, 5, v[0:1]
	v_mov_b32_e32 v6, 0
	s_delay_alu instid0(VALU_DEP_1) | instskip(NEXT) | instid1(VALU_DEP_1)
	v_lshlrev_b64 v[5:6], 3, v[5:6]
	v_add_co_u32 v5, vcc_lo, s4, v5
	s_delay_alu instid0(VALU_DEP_2)
	v_add_co_ci_u32_e32 v6, vcc_lo, s5, v6, vcc_lo
	global_load_b64 v[7:8], v[5:6], off
	s_waitcnt vmcnt(0)
	v_fma_f64 v[0:1], v[1:2], v[7:8], v[3:4]
	global_store_b64 v[5:6], v[0:1], off
	s_nop 0
	s_sendmsg sendmsg(MSG_DEALLOC_VGPRS)
	s_endpgm
	.section	.rodata,"a",@progbits
	.p2align	6, 0x0
	.amdhsa_kernel _ZN9rocsparseL18bsrxmvn_5x5_kernelILj50EdlidddEEvT2_20rocsparse_direction_NS_24const_host_device_scalarIT0_EES1_PKS1_PKT1_SA_S7_PKT3_PKT4_S5_PT5_21rocsparse_index_base_b
		.amdhsa_group_segment_fixed_size 400
		.amdhsa_private_segment_fixed_size 0
		.amdhsa_kernarg_size 96
		.amdhsa_user_sgpr_count 15
		.amdhsa_user_sgpr_dispatch_ptr 0
		.amdhsa_user_sgpr_queue_ptr 0
		.amdhsa_user_sgpr_kernarg_segment_ptr 1
		.amdhsa_user_sgpr_dispatch_id 0
		.amdhsa_user_sgpr_private_segment_size 0
		.amdhsa_wavefront_size32 1
		.amdhsa_uses_dynamic_stack 0
		.amdhsa_enable_private_segment 0
		.amdhsa_system_sgpr_workgroup_id_x 1
		.amdhsa_system_sgpr_workgroup_id_y 0
		.amdhsa_system_sgpr_workgroup_id_z 0
		.amdhsa_system_sgpr_workgroup_info 0
		.amdhsa_system_vgpr_workitem_id 0
		.amdhsa_next_free_vgpr 19
		.amdhsa_next_free_sgpr 20
		.amdhsa_reserve_vcc 1
		.amdhsa_float_round_mode_32 0
		.amdhsa_float_round_mode_16_64 0
		.amdhsa_float_denorm_mode_32 3
		.amdhsa_float_denorm_mode_16_64 3
		.amdhsa_dx10_clamp 1
		.amdhsa_ieee_mode 1
		.amdhsa_fp16_overflow 0
		.amdhsa_workgroup_processor_mode 1
		.amdhsa_memory_ordered 1
		.amdhsa_forward_progress 0
		.amdhsa_shared_vgpr_count 0
		.amdhsa_exception_fp_ieee_invalid_op 0
		.amdhsa_exception_fp_denorm_src 0
		.amdhsa_exception_fp_ieee_div_zero 0
		.amdhsa_exception_fp_ieee_overflow 0
		.amdhsa_exception_fp_ieee_underflow 0
		.amdhsa_exception_fp_ieee_inexact 0
		.amdhsa_exception_int_div_zero 0
	.end_amdhsa_kernel
	.section	.text._ZN9rocsparseL18bsrxmvn_5x5_kernelILj50EdlidddEEvT2_20rocsparse_direction_NS_24const_host_device_scalarIT0_EES1_PKS1_PKT1_SA_S7_PKT3_PKT4_S5_PT5_21rocsparse_index_base_b,"axG",@progbits,_ZN9rocsparseL18bsrxmvn_5x5_kernelILj50EdlidddEEvT2_20rocsparse_direction_NS_24const_host_device_scalarIT0_EES1_PKS1_PKT1_SA_S7_PKT3_PKT4_S5_PT5_21rocsparse_index_base_b,comdat
.Lfunc_end9:
	.size	_ZN9rocsparseL18bsrxmvn_5x5_kernelILj50EdlidddEEvT2_20rocsparse_direction_NS_24const_host_device_scalarIT0_EES1_PKS1_PKT1_SA_S7_PKT3_PKT4_S5_PT5_21rocsparse_index_base_b, .Lfunc_end9-_ZN9rocsparseL18bsrxmvn_5x5_kernelILj50EdlidddEEvT2_20rocsparse_direction_NS_24const_host_device_scalarIT0_EES1_PKS1_PKT1_SA_S7_PKT3_PKT4_S5_PT5_21rocsparse_index_base_b
                                        ; -- End function
	.section	.AMDGPU.csdata,"",@progbits
; Kernel info:
; codeLenInByte = 1584
; NumSgprs: 22
; NumVgprs: 19
; ScratchSize: 0
; MemoryBound: 0
; FloatMode: 240
; IeeeMode: 1
; LDSByteSize: 400 bytes/workgroup (compile time only)
; SGPRBlocks: 2
; VGPRBlocks: 2
; NumSGPRsForWavesPerEU: 22
; NumVGPRsForWavesPerEU: 19
; Occupancy: 16
; WaveLimiterHint : 1
; COMPUTE_PGM_RSRC2:SCRATCH_EN: 0
; COMPUTE_PGM_RSRC2:USER_SGPR: 15
; COMPUTE_PGM_RSRC2:TRAP_HANDLER: 0
; COMPUTE_PGM_RSRC2:TGID_X_EN: 1
; COMPUTE_PGM_RSRC2:TGID_Y_EN: 0
; COMPUTE_PGM_RSRC2:TGID_Z_EN: 0
; COMPUTE_PGM_RSRC2:TIDIG_COMP_CNT: 0
	.section	.text._ZN9rocsparseL18bsrxmvn_5x5_kernelILj50E21rocsparse_complex_numIfEliS2_S2_S2_EEvT2_20rocsparse_direction_NS_24const_host_device_scalarIT0_EES3_PKS3_PKT1_SC_S9_PKT3_PKT4_S7_PT5_21rocsparse_index_base_b,"axG",@progbits,_ZN9rocsparseL18bsrxmvn_5x5_kernelILj50E21rocsparse_complex_numIfEliS2_S2_S2_EEvT2_20rocsparse_direction_NS_24const_host_device_scalarIT0_EES3_PKS3_PKT1_SC_S9_PKT3_PKT4_S7_PT5_21rocsparse_index_base_b,comdat
	.globl	_ZN9rocsparseL18bsrxmvn_5x5_kernelILj50E21rocsparse_complex_numIfEliS2_S2_S2_EEvT2_20rocsparse_direction_NS_24const_host_device_scalarIT0_EES3_PKS3_PKT1_SC_S9_PKT3_PKT4_S7_PT5_21rocsparse_index_base_b ; -- Begin function _ZN9rocsparseL18bsrxmvn_5x5_kernelILj50E21rocsparse_complex_numIfEliS2_S2_S2_EEvT2_20rocsparse_direction_NS_24const_host_device_scalarIT0_EES3_PKS3_PKT1_SC_S9_PKT3_PKT4_S7_PT5_21rocsparse_index_base_b
	.p2align	8
	.type	_ZN9rocsparseL18bsrxmvn_5x5_kernelILj50E21rocsparse_complex_numIfEliS2_S2_S2_EEvT2_20rocsparse_direction_NS_24const_host_device_scalarIT0_EES3_PKS3_PKT1_SC_S9_PKT3_PKT4_S7_PT5_21rocsparse_index_base_b,@function
_ZN9rocsparseL18bsrxmvn_5x5_kernelILj50E21rocsparse_complex_numIfEliS2_S2_S2_EEvT2_20rocsparse_direction_NS_24const_host_device_scalarIT0_EES3_PKS3_PKT1_SC_S9_PKT3_PKT4_S7_PT5_21rocsparse_index_base_b: ; @_ZN9rocsparseL18bsrxmvn_5x5_kernelILj50E21rocsparse_complex_numIfEliS2_S2_S2_EEvT2_20rocsparse_direction_NS_24const_host_device_scalarIT0_EES3_PKS3_PKT1_SC_S9_PKT3_PKT4_S7_PT5_21rocsparse_index_base_b
; %bb.0:
	s_clause 0x2
	s_load_b64 s[10:11], s[0:1], 0x58
	s_load_b64 s[4:5], s[0:1], 0x8
	;; [unrolled: 1-line block ×3, first 2 shown]
	s_mov_b32 s8, s15
	s_waitcnt lgkmcnt(0)
	s_bitcmp1_b32 s11, 0
	v_mov_b32_e32 v10, s4
	s_cselect_b32 s6, -1, 0
	s_delay_alu instid0(SALU_CYCLE_1)
	s_and_b32 vcc_lo, exec_lo, s6
	s_xor_b32 s6, s6, -1
	s_cbranch_vccz .LBB10_15
; %bb.1:
	v_cndmask_b32_e64 v1, 0, 1, s6
	v_mov_b32_e32 v11, s5
	s_and_not1_b32 vcc_lo, exec_lo, s6
	s_cbranch_vccz .LBB10_16
.LBB10_2:
	s_delay_alu instid0(VALU_DEP_2)
	v_cmp_ne_u32_e32 vcc_lo, 1, v1
	v_mov_b32_e32 v8, s2
	s_cbranch_vccz .LBB10_17
.LBB10_3:
	v_cmp_ne_u32_e32 vcc_lo, 1, v1
	v_mov_b32_e32 v9, s3
	s_cbranch_vccnz .LBB10_5
.LBB10_4:
	v_dual_mov_b32 v1, s2 :: v_dual_mov_b32 v2, s3
	flat_load_b32 v9, v[1:2] offset:4
.LBB10_5:
	s_waitcnt vmcnt(0) lgkmcnt(0)
	v_cmp_eq_f32_e32 vcc_lo, 0, v10
	v_cmp_eq_f32_e64 s2, 0, v11
	s_delay_alu instid0(VALU_DEP_1)
	s_and_b32 s4, vcc_lo, s2
	s_mov_b32 s2, -1
	s_and_saveexec_b32 s3, s4
; %bb.6:
	v_cmp_neq_f32_e32 vcc_lo, 1.0, v8
	v_cmp_neq_f32_e64 s2, 0, v9
	s_delay_alu instid0(VALU_DEP_1) | instskip(NEXT) | instid1(SALU_CYCLE_1)
	s_or_b32 s2, vcc_lo, s2
	s_or_not1_b32 s2, s2, exec_lo
; %bb.7:
	s_or_b32 exec_lo, exec_lo, s3
	s_and_saveexec_b32 s3, s2
	s_cbranch_execz .LBB10_40
; %bb.8:
	s_clause 0x1
	s_load_b128 s[4:7], s[0:1], 0x18
	s_load_b64 s[12:13], s[0:1], 0x28
	s_waitcnt lgkmcnt(0)
	s_cmp_eq_u64 s[4:5], 0
	s_cbranch_scc1 .LBB10_10
; %bb.9:
	s_ashr_i32 s9, s8, 31
	s_delay_alu instid0(SALU_CYCLE_1) | instskip(NEXT) | instid1(SALU_CYCLE_1)
	s_lshl_b64 s[2:3], s[8:9], 2
	s_add_u32 s2, s4, s2
	s_addc_u32 s3, s5, s3
	s_load_b32 s2, s[2:3], 0x0
	s_waitcnt lgkmcnt(0)
	s_sub_i32 s8, s2, s10
.LBB10_10:
	s_load_b32 s3, s[0:1], 0x4
	v_mul_u32_u24_e32 v1, 0x3334, v0
	v_mov_b32_e32 v2, 0
	v_lshlrev_b32_e32 v12, 3, v0
	s_delay_alu instid0(VALU_DEP_3) | instskip(NEXT) | instid1(VALU_DEP_1)
	v_lshrrev_b32_e32 v3, 16, v1
	v_mul_lo_u16 v1, v3, 5
	s_delay_alu instid0(VALU_DEP_1)
	v_sub_nc_u16 v13, v0, v1
	v_mov_b32_e32 v1, 0
	s_waitcnt lgkmcnt(0)
	s_cmp_eq_u32 s3, 1
	s_cselect_b32 s2, -1, 0
	s_cmp_lg_u32 s3, 1
	s_cselect_b32 s11, -1, 0
	s_ashr_i32 s9, s8, 31
	s_delay_alu instid0(SALU_CYCLE_1) | instskip(NEXT) | instid1(SALU_CYCLE_1)
	s_lshl_b64 s[4:5], s[8:9], 3
	s_add_u32 s6, s6, s4
	s_addc_u32 s7, s7, s5
	s_add_u32 s3, s6, 8
	s_addc_u32 s9, s7, 0
	;; [unrolled: 2-line block ×3, first 2 shown]
	s_cmp_eq_u64 s[12:13], 0
	s_cselect_b32 s5, s9, s5
	s_cselect_b32 s4, s3, s4
	s_load_b64 s[12:13], s[6:7], 0x0
	s_load_b64 s[6:7], s[4:5], 0x0
	s_load_b64 s[4:5], s[0:1], 0x50
	s_waitcnt lgkmcnt(0)
	v_cmp_ge_i64_e64 s3, s[12:13], s[6:7]
	s_delay_alu instid0(VALU_DEP_1)
	s_and_b32 vcc_lo, exec_lo, s3
	s_cbranch_vccnz .LBB10_18
; %bb.11:
	v_dual_mov_b32 v2, 0 :: v_dual_lshlrev_b32 v1, 3, v0
	v_mul_lo_u16 v6, v3, 52
	v_and_b32_e32 v7, 0xffff, v0
	s_clause 0x1
	s_load_b128 s[16:19], s[0:1], 0x30
	s_load_b64 s[0:1], s[0:1], 0x40
	v_and_b32_e32 v15, 0xffff, v13
	v_mad_u64_u32 v[4:5], null, 0xc8, s12, v[1:2]
	v_lshrrev_b16 v1, 8, v6
	v_mul_u32_u24_e32 v6, 0xa3e, v7
	s_mul_i32 s9, s10, 0xc8
	s_mul_hi_u32 s3, s10, 0xc8
	s_sub_u32 s6, s6, s10
	v_mul_lo_u16 v7, v1, 5
	s_delay_alu instid0(VALU_DEP_4) | instskip(SKIP_2) | instid1(VALU_DEP_3)
	v_mov_b32_e32 v1, v5
	v_lshrrev_b32_e32 v14, 16, v6
	s_subb_u32 s7, s7, 0
	v_sub_nc_u16 v3, v3, v7
	s_delay_alu instid0(VALU_DEP_3) | instskip(NEXT) | instid1(VALU_DEP_3)
	v_mad_u64_u32 v[5:6], null, 0xc8, s13, v[1:2]
	v_add_co_u32 v6, s14, s12, v14
	s_delay_alu instid0(VALU_DEP_3) | instskip(SKIP_1) | instid1(VALU_DEP_2)
	v_and_b32_e32 v1, 0xff, v3
	v_add_co_ci_u32_e64 v7, null, s13, 0, s14
	v_cndmask_b32_e64 v3, v15, v1, s2
	v_sub_co_u32 v1, vcc_lo, v4, s9
	v_subrev_co_ci_u32_e32 v15, vcc_lo, s3, v5, vcc_lo
	v_sub_co_u32 v4, vcc_lo, v6, s10
	v_subrev_co_ci_u32_e32 v5, vcc_lo, 0, v7, vcc_lo
	s_waitcnt lgkmcnt(0)
	v_add_co_u32 v1, vcc_lo, s18, v1
	v_add_co_ci_u32_e32 v15, vcc_lo, s19, v15, vcc_lo
	s_delay_alu instid0(VALU_DEP_3) | instskip(NEXT) | instid1(VALU_DEP_3)
	v_lshlrev_b64 v[6:7], 2, v[4:5]
	v_add_co_u32 v4, vcc_lo, v1, 4
	s_delay_alu instid0(VALU_DEP_3) | instskip(SKIP_1) | instid1(VALU_DEP_4)
	v_add_co_ci_u32_e32 v5, vcc_lo, 0, v15, vcc_lo
	v_mov_b32_e32 v1, v2
	v_add_co_u32 v6, vcc_lo, s16, v6
	v_add_co_ci_u32_e32 v7, vcc_lo, s17, v7, vcc_lo
	s_sub_u32 s2, s12, s10
	s_subb_u32 s3, s13, 0
	s_set_inst_prefetch_distance 0x1
	s_branch .LBB10_13
	.p2align	6
.LBB10_12:                              ;   in Loop: Header=BB10_13 Depth=1
	s_or_b32 exec_lo, exec_lo, s9
	s_add_u32 s2, s2, 2
	s_addc_u32 s3, s3, 0
	v_add_co_u32 v4, vcc_lo, 0x190, v4
	v_cmp_ge_i64_e64 s9, s[2:3], s[6:7]
	v_add_co_ci_u32_e32 v5, vcc_lo, 0, v5, vcc_lo
	v_add_co_u32 v6, vcc_lo, v6, 8
	v_add_co_ci_u32_e32 v7, vcc_lo, 0, v7, vcc_lo
	s_delay_alu instid0(VALU_DEP_4)
	s_and_b32 vcc_lo, exec_lo, s9
	s_cbranch_vccnz .LBB10_18
.LBB10_13:                              ; =>This Inner Loop Header: Depth=1
	v_add_co_u32 v15, s9, v14, s2
	s_delay_alu instid0(VALU_DEP_1) | instskip(SKIP_1) | instid1(VALU_DEP_1)
	v_add_co_ci_u32_e64 v16, null, 0, s3, s9
	s_mov_b32 s9, exec_lo
	v_cmpx_gt_i64_e64 s[6:7], v[15:16]
	s_cbranch_execz .LBB10_12
; %bb.14:                               ;   in Loop: Header=BB10_13 Depth=1
	global_load_b32 v15, v[6:7], off
	s_waitcnt vmcnt(0)
	v_subrev_nc_u32_e32 v17, s10, v15
	s_delay_alu instid0(VALU_DEP_1) | instskip(NEXT) | instid1(VALU_DEP_1)
	v_mad_u64_u32 v[15:16], null, v17, 5, v[3:4]
	v_ashrrev_i32_e32 v16, 31, v15
	s_delay_alu instid0(VALU_DEP_1) | instskip(NEXT) | instid1(VALU_DEP_1)
	v_lshlrev_b64 v[15:16], 3, v[15:16]
	v_add_co_u32 v15, vcc_lo, s0, v15
	s_delay_alu instid0(VALU_DEP_2)
	v_add_co_ci_u32_e32 v16, vcc_lo, s1, v16, vcc_lo
	global_load_b64 v[17:18], v[4:5], off offset:-4
	global_load_b64 v[15:16], v[15:16], off
	s_waitcnt vmcnt(0)
	v_fmac_f32_e32 v1, v17, v15
	v_fmac_f32_e32 v2, v18, v15
	s_delay_alu instid0(VALU_DEP_2) | instskip(NEXT) | instid1(VALU_DEP_2)
	v_fma_f32 v1, -v18, v16, v1
	v_fmac_f32_e32 v2, v17, v16
	s_branch .LBB10_12
.LBB10_15:
	v_dual_mov_b32 v1, s4 :: v_dual_mov_b32 v2, s5
	flat_load_b32 v10, v[1:2]
	v_cndmask_b32_e64 v1, 0, 1, s6
	v_mov_b32_e32 v11, s5
	s_and_not1_b32 vcc_lo, exec_lo, s6
	s_cbranch_vccnz .LBB10_2
.LBB10_16:
	v_dual_mov_b32 v2, s4 :: v_dual_mov_b32 v3, s5
	flat_load_b32 v11, v[2:3] offset:4
	v_cmp_ne_u32_e32 vcc_lo, 1, v1
	v_mov_b32_e32 v8, s2
	s_cbranch_vccnz .LBB10_3
.LBB10_17:
	v_dual_mov_b32 v2, s2 :: v_dual_mov_b32 v3, s3
	flat_load_b32 v8, v[2:3]
	v_cmp_ne_u32_e32 vcc_lo, 1, v1
	v_mov_b32_e32 v9, s3
	s_cbranch_vccz .LBB10_4
	s_branch .LBB10_5
.LBB10_18:
	s_set_inst_prefetch_distance 0x2
	s_and_b32 vcc_lo, exec_lo, s11
	ds_store_b64 v12, v[1:2]
	s_waitcnt lgkmcnt(0)
	buffer_gl0_inv
	s_cbranch_vccz .LBB10_28
; %bb.19:
	s_mov_b32 s0, exec_lo
	v_cmpx_gt_u32_e32 25, v0
	s_cbranch_execz .LBB10_21
; %bb.20:
	ds_load_2addr_b64 v[3:6], v12 offset1:25
	s_waitcnt lgkmcnt(0)
	v_dual_add_f32 v3, v5, v3 :: v_dual_add_f32 v4, v6, v4
	ds_store_b64 v12, v[3:4]
.LBB10_21:
	s_or_b32 exec_lo, exec_lo, s0
	s_delay_alu instid0(SALU_CYCLE_1)
	s_mov_b32 s0, exec_lo
	s_waitcnt lgkmcnt(0)
	buffer_gl0_inv
	v_cmpx_eq_u16_e32 0, v13
	s_cbranch_execz .LBB10_23
; %bb.22:
	ds_load_2addr_b64 v[3:6], v12 offset1:4
	s_waitcnt lgkmcnt(0)
	v_dual_add_f32 v3, v5, v3 :: v_dual_add_f32 v4, v6, v4
	ds_store_b64 v12, v[3:4]
.LBB10_23:
	s_or_b32 exec_lo, exec_lo, s0
	s_delay_alu instid0(SALU_CYCLE_1)
	s_mov_b32 s0, exec_lo
	s_waitcnt lgkmcnt(0)
	buffer_gl0_inv
	v_cmpx_gt_u16_e32 2, v13
	s_cbranch_execz .LBB10_25
; %bb.24:
	ds_load_2addr_b64 v[3:6], v12 offset1:2
	s_waitcnt lgkmcnt(0)
	v_dual_add_f32 v3, v5, v3 :: v_dual_add_f32 v4, v6, v4
	ds_store_b64 v12, v[3:4]
.LBB10_25:
	s_or_b32 exec_lo, exec_lo, s0
	s_mov_b32 s0, 0
	s_mov_b32 s1, 0
	s_mov_b32 s2, exec_lo
	s_waitcnt lgkmcnt(0)
	buffer_gl0_inv
                                        ; implicit-def: $vgpr4
                                        ; implicit-def: $vgpr3
	v_cmpx_gt_u32_e32 5, v0
	s_xor_b32 s2, exec_lo, s2
; %bb.26:
	v_lshl_add_u32 v4, v0, 5, v12
	v_mad_u32_u24 v3, v0, 5, 1
	s_mov_b32 s1, exec_lo
; %bb.27:
	s_or_b32 exec_lo, exec_lo, s2
	s_delay_alu instid0(SALU_CYCLE_1)
	s_and_b32 vcc_lo, exec_lo, s0
	s_cbranch_vccnz .LBB10_29
	s_branch .LBB10_38
.LBB10_28:
	s_mov_b32 s1, 0
                                        ; implicit-def: $vgpr4
                                        ; implicit-def: $vgpr3
	s_cbranch_execz .LBB10_38
.LBB10_29:
	v_cmp_gt_u32_e32 vcc_lo, 10, v0
	s_and_saveexec_b32 s0, vcc_lo
	s_cbranch_execz .LBB10_31
; %bb.30:
	ds_load_2addr_b64 v[3:6], v12 offset1:40
	s_waitcnt lgkmcnt(0)
	v_dual_add_f32 v3, v5, v3 :: v_dual_add_f32 v4, v6, v4
	ds_store_b64 v12, v[3:4]
.LBB10_31:
	s_or_b32 exec_lo, exec_lo, s0
	s_delay_alu instid0(SALU_CYCLE_1)
	s_mov_b32 s2, exec_lo
	s_waitcnt lgkmcnt(0)
	buffer_gl0_inv
	v_cmpx_gt_u32_e32 20, v0
	s_cbranch_execz .LBB10_33
; %bb.32:
	ds_load_2addr_b64 v[3:6], v12 offset1:20
	s_waitcnt lgkmcnt(0)
	v_dual_add_f32 v3, v5, v3 :: v_dual_add_f32 v4, v6, v4
	ds_store_b64 v12, v[3:4]
.LBB10_33:
	s_or_b32 exec_lo, exec_lo, s2
	s_waitcnt lgkmcnt(0)
	buffer_gl0_inv
	s_and_saveexec_b32 s0, vcc_lo
	s_cbranch_execz .LBB10_35
; %bb.34:
	ds_load_2addr_b64 v[3:6], v12 offset1:10
	s_waitcnt lgkmcnt(0)
	v_dual_add_f32 v3, v5, v3 :: v_dual_add_f32 v4, v6, v4
	ds_store_b64 v12, v[3:4]
.LBB10_35:
	s_or_b32 exec_lo, exec_lo, s0
	s_delay_alu instid0(SALU_CYCLE_1)
	s_mov_b32 s0, exec_lo
	s_waitcnt lgkmcnt(0)
	buffer_gl0_inv
                                        ; implicit-def: $vgpr3
	v_cmpx_gt_u32_e32 5, v0
; %bb.36:
	v_add_nc_u32_e32 v3, 5, v0
	s_or_b32 s1, s1, exec_lo
                                        ; implicit-def: $vgpr2
; %bb.37:
	s_or_b32 exec_lo, exec_lo, s0
	v_mov_b32_e32 v4, v12
.LBB10_38:
	s_and_saveexec_b32 s0, s1
	s_cbranch_execnz .LBB10_41
; %bb.39:
	s_or_b32 exec_lo, exec_lo, s0
	v_cmp_gt_u32_e32 vcc_lo, 5, v0
	s_and_b32 exec_lo, exec_lo, vcc_lo
	s_cbranch_execnz .LBB10_42
.LBB10_40:
	s_nop 0
	s_sendmsg sendmsg(MSG_DEALLOC_VGPRS)
	s_endpgm
.LBB10_41:
	v_lshlrev_b32_e32 v3, 3, v3
	ds_load_2addr_b32 v[1:2], v4 offset1:1
	ds_load_b64 v[3:4], v3
	s_waitcnt lgkmcnt(0)
	v_dual_add_f32 v2, v4, v2 :: v_dual_add_f32 v1, v3, v1
	s_or_b32 exec_lo, exec_lo, s0
	v_cmp_gt_u32_e32 vcc_lo, 5, v0
	s_and_b32 exec_lo, exec_lo, vcc_lo
	s_cbranch_execz .LBB10_40
.LBB10_42:
	v_mul_f32_e64 v3, v2, -v11
	v_mul_f32_e32 v4, v2, v10
	v_cmp_eq_f32_e32 vcc_lo, 0, v8
	v_cmp_eq_f32_e64 s0, 0, v9
	s_delay_alu instid0(VALU_DEP_4) | instskip(NEXT) | instid1(VALU_DEP_4)
	v_fmac_f32_e32 v3, v10, v1
	v_fmac_f32_e32 v4, v11, v1
	s_delay_alu instid0(VALU_DEP_3) | instskip(NEXT) | instid1(SALU_CYCLE_1)
	s_and_b32 s0, vcc_lo, s0
	s_and_saveexec_b32 s1, s0
	s_delay_alu instid0(SALU_CYCLE_1)
	s_xor_b32 s0, exec_lo, s1
	s_cbranch_execz .LBB10_44
; %bb.43:
	v_mad_u64_u32 v[1:2], null, s8, 5, v[0:1]
	v_mov_b32_e32 v2, 0
                                        ; implicit-def: $vgpr8
                                        ; implicit-def: $vgpr9
	s_delay_alu instid0(VALU_DEP_1) | instskip(NEXT) | instid1(VALU_DEP_1)
	v_lshlrev_b64 v[0:1], 3, v[1:2]
	v_add_co_u32 v0, vcc_lo, s4, v0
	s_delay_alu instid0(VALU_DEP_2)
	v_add_co_ci_u32_e32 v1, vcc_lo, s5, v1, vcc_lo
	global_store_b64 v[0:1], v[3:4], off
                                        ; implicit-def: $vgpr0
                                        ; implicit-def: $vgpr3
.LBB10_44:
	s_and_not1_saveexec_b32 s0, s0
	s_cbranch_execz .LBB10_40
; %bb.45:
	v_mad_u64_u32 v[1:2], null, s8, 5, v[0:1]
	v_mov_b32_e32 v2, 0
	s_delay_alu instid0(VALU_DEP_1) | instskip(NEXT) | instid1(VALU_DEP_1)
	v_lshlrev_b64 v[0:1], 3, v[1:2]
	v_add_co_u32 v0, vcc_lo, s4, v0
	s_delay_alu instid0(VALU_DEP_2) | instskip(SKIP_4) | instid1(VALU_DEP_2)
	v_add_co_ci_u32_e32 v1, vcc_lo, s5, v1, vcc_lo
	global_load_b64 v[5:6], v[0:1], off
	s_waitcnt vmcnt(0)
	v_fmac_f32_e32 v3, v8, v5
	v_fmac_f32_e32 v4, v9, v5
	v_fma_f32 v3, -v9, v6, v3
	s_delay_alu instid0(VALU_DEP_2)
	v_fmac_f32_e32 v4, v8, v6
	global_store_b64 v[0:1], v[3:4], off
	s_nop 0
	s_sendmsg sendmsg(MSG_DEALLOC_VGPRS)
	s_endpgm
	.section	.rodata,"a",@progbits
	.p2align	6, 0x0
	.amdhsa_kernel _ZN9rocsparseL18bsrxmvn_5x5_kernelILj50E21rocsparse_complex_numIfEliS2_S2_S2_EEvT2_20rocsparse_direction_NS_24const_host_device_scalarIT0_EES3_PKS3_PKT1_SC_S9_PKT3_PKT4_S7_PT5_21rocsparse_index_base_b
		.amdhsa_group_segment_fixed_size 400
		.amdhsa_private_segment_fixed_size 0
		.amdhsa_kernarg_size 96
		.amdhsa_user_sgpr_count 15
		.amdhsa_user_sgpr_dispatch_ptr 0
		.amdhsa_user_sgpr_queue_ptr 0
		.amdhsa_user_sgpr_kernarg_segment_ptr 1
		.amdhsa_user_sgpr_dispatch_id 0
		.amdhsa_user_sgpr_private_segment_size 0
		.amdhsa_wavefront_size32 1
		.amdhsa_uses_dynamic_stack 0
		.amdhsa_enable_private_segment 0
		.amdhsa_system_sgpr_workgroup_id_x 1
		.amdhsa_system_sgpr_workgroup_id_y 0
		.amdhsa_system_sgpr_workgroup_id_z 0
		.amdhsa_system_sgpr_workgroup_info 0
		.amdhsa_system_vgpr_workitem_id 0
		.amdhsa_next_free_vgpr 19
		.amdhsa_next_free_sgpr 20
		.amdhsa_reserve_vcc 1
		.amdhsa_float_round_mode_32 0
		.amdhsa_float_round_mode_16_64 0
		.amdhsa_float_denorm_mode_32 3
		.amdhsa_float_denorm_mode_16_64 3
		.amdhsa_dx10_clamp 1
		.amdhsa_ieee_mode 1
		.amdhsa_fp16_overflow 0
		.amdhsa_workgroup_processor_mode 1
		.amdhsa_memory_ordered 1
		.amdhsa_forward_progress 0
		.amdhsa_shared_vgpr_count 0
		.amdhsa_exception_fp_ieee_invalid_op 0
		.amdhsa_exception_fp_denorm_src 0
		.amdhsa_exception_fp_ieee_div_zero 0
		.amdhsa_exception_fp_ieee_overflow 0
		.amdhsa_exception_fp_ieee_underflow 0
		.amdhsa_exception_fp_ieee_inexact 0
		.amdhsa_exception_int_div_zero 0
	.end_amdhsa_kernel
	.section	.text._ZN9rocsparseL18bsrxmvn_5x5_kernelILj50E21rocsparse_complex_numIfEliS2_S2_S2_EEvT2_20rocsparse_direction_NS_24const_host_device_scalarIT0_EES3_PKS3_PKT1_SC_S9_PKT3_PKT4_S7_PT5_21rocsparse_index_base_b,"axG",@progbits,_ZN9rocsparseL18bsrxmvn_5x5_kernelILj50E21rocsparse_complex_numIfEliS2_S2_S2_EEvT2_20rocsparse_direction_NS_24const_host_device_scalarIT0_EES3_PKS3_PKT1_SC_S9_PKT3_PKT4_S7_PT5_21rocsparse_index_base_b,comdat
.Lfunc_end10:
	.size	_ZN9rocsparseL18bsrxmvn_5x5_kernelILj50E21rocsparse_complex_numIfEliS2_S2_S2_EEvT2_20rocsparse_direction_NS_24const_host_device_scalarIT0_EES3_PKS3_PKT1_SC_S9_PKT3_PKT4_S7_PT5_21rocsparse_index_base_b, .Lfunc_end10-_ZN9rocsparseL18bsrxmvn_5x5_kernelILj50E21rocsparse_complex_numIfEliS2_S2_S2_EEvT2_20rocsparse_direction_NS_24const_host_device_scalarIT0_EES3_PKS3_PKT1_SC_S9_PKT3_PKT4_S7_PT5_21rocsparse_index_base_b
                                        ; -- End function
	.section	.AMDGPU.csdata,"",@progbits
; Kernel info:
; codeLenInByte = 1788
; NumSgprs: 22
; NumVgprs: 19
; ScratchSize: 0
; MemoryBound: 0
; FloatMode: 240
; IeeeMode: 1
; LDSByteSize: 400 bytes/workgroup (compile time only)
; SGPRBlocks: 2
; VGPRBlocks: 2
; NumSGPRsForWavesPerEU: 22
; NumVGPRsForWavesPerEU: 19
; Occupancy: 16
; WaveLimiterHint : 1
; COMPUTE_PGM_RSRC2:SCRATCH_EN: 0
; COMPUTE_PGM_RSRC2:USER_SGPR: 15
; COMPUTE_PGM_RSRC2:TRAP_HANDLER: 0
; COMPUTE_PGM_RSRC2:TGID_X_EN: 1
; COMPUTE_PGM_RSRC2:TGID_Y_EN: 0
; COMPUTE_PGM_RSRC2:TGID_Z_EN: 0
; COMPUTE_PGM_RSRC2:TIDIG_COMP_CNT: 0
	.section	.text._ZN9rocsparseL18bsrxmvn_5x5_kernelILj50E21rocsparse_complex_numIdEliS2_S2_S2_EEvT2_20rocsparse_direction_NS_24const_host_device_scalarIT0_EES3_PKS3_PKT1_SC_S9_PKT3_PKT4_S7_PT5_21rocsparse_index_base_b,"axG",@progbits,_ZN9rocsparseL18bsrxmvn_5x5_kernelILj50E21rocsparse_complex_numIdEliS2_S2_S2_EEvT2_20rocsparse_direction_NS_24const_host_device_scalarIT0_EES3_PKS3_PKT1_SC_S9_PKT3_PKT4_S7_PT5_21rocsparse_index_base_b,comdat
	.globl	_ZN9rocsparseL18bsrxmvn_5x5_kernelILj50E21rocsparse_complex_numIdEliS2_S2_S2_EEvT2_20rocsparse_direction_NS_24const_host_device_scalarIT0_EES3_PKS3_PKT1_SC_S9_PKT3_PKT4_S7_PT5_21rocsparse_index_base_b ; -- Begin function _ZN9rocsparseL18bsrxmvn_5x5_kernelILj50E21rocsparse_complex_numIdEliS2_S2_S2_EEvT2_20rocsparse_direction_NS_24const_host_device_scalarIT0_EES3_PKS3_PKT1_SC_S9_PKT3_PKT4_S7_PT5_21rocsparse_index_base_b
	.p2align	8
	.type	_ZN9rocsparseL18bsrxmvn_5x5_kernelILj50E21rocsparse_complex_numIdEliS2_S2_S2_EEvT2_20rocsparse_direction_NS_24const_host_device_scalarIT0_EES3_PKS3_PKT1_SC_S9_PKT3_PKT4_S7_PT5_21rocsparse_index_base_b,@function
_ZN9rocsparseL18bsrxmvn_5x5_kernelILj50E21rocsparse_complex_numIdEliS2_S2_S2_EEvT2_20rocsparse_direction_NS_24const_host_device_scalarIT0_EES3_PKS3_PKT1_SC_S9_PKT3_PKT4_S7_PT5_21rocsparse_index_base_b: ; @_ZN9rocsparseL18bsrxmvn_5x5_kernelILj50E21rocsparse_complex_numIdEliS2_S2_S2_EEvT2_20rocsparse_direction_NS_24const_host_device_scalarIT0_EES3_PKS3_PKT1_SC_S9_PKT3_PKT4_S7_PT5_21rocsparse_index_base_b
; %bb.0:
	s_mov_b32 s12, s15
	s_load_b64 s[14:15], s[2:3], 0x68
	s_load_b64 s[16:17], s[0:1], 0x4
	s_load_b128 s[8:11], s[2:3], 0x8
	v_bfe_u32 v1, v0, 10, 10
	s_mov_b64 s[0:1], src_shared_base
	s_load_b128 s[4:7], s[2:3], 0x50
	v_and_b32_e32 v4, 0x3ff, v0
	v_bfe_u32 v0, v0, 20, 10
	s_waitcnt lgkmcnt(0)
	s_bitcmp1_b32 s15, 0
	v_mul_u32_u24_e32 v1, s17, v1
	s_cselect_b32 s0, -1, 0
	v_mov_b32_e32 v12, s11
	s_and_b32 vcc_lo, s0, exec_lo
	s_cselect_b32 s13, s1, s9
	s_lshr_b32 s15, s16, 16
	v_dual_mov_b32 v2, s4 :: v_dual_mov_b32 v3, s5
	s_mul_i32 s15, s15, s17
	v_dual_mov_b32 v6, s13 :: v_dual_mov_b32 v11, s10
	v_mad_u32_u24 v1, s15, v4, v1
	s_xor_b32 s10, s0, -1
	s_delay_alu instid0(VALU_DEP_1) | instskip(SKIP_1) | instid1(VALU_DEP_2)
	v_add_lshl_u32 v7, v1, v0, 3
	v_dual_mov_b32 v0, s8 :: v_dual_mov_b32 v1, s9
	v_add_nc_u32_e32 v5, 0x4b0, v7
	ds_store_2addr_b64 v7, v[2:3], v[0:1] offset0:100 offset1:150
	v_add_nc_u32_e32 v0, 0x320, v7
	v_cndmask_b32_e64 v5, s8, v5, s0
	flat_load_b64 v[9:10], v[5:6]
	s_cbranch_vccnz .LBB11_2
; %bb.1:
	v_dual_mov_b32 v1, s8 :: v_dual_mov_b32 v2, s9
	flat_load_b64 v[11:12], v[1:2] offset:8
.LBB11_2:
	s_and_b32 s8, s0, exec_lo
	s_cselect_b32 s1, s1, s5
	v_cndmask_b32_e64 v0, s4, v0, s0
	v_dual_mov_b32 v1, s1 :: v_dual_mov_b32 v8, s7
	v_mov_b32_e32 v7, s6
	s_and_not1_b32 vcc_lo, exec_lo, s10
	flat_load_b64 v[5:6], v[0:1]
	s_cbranch_vccnz .LBB11_4
; %bb.3:
	v_dual_mov_b32 v0, s4 :: v_dual_mov_b32 v1, s5
	flat_load_b64 v[7:8], v[0:1] offset:8
.LBB11_4:
	s_waitcnt vmcnt(1) lgkmcnt(1)
	v_cmp_eq_f64_e32 vcc_lo, 0, v[9:10]
	v_cmp_eq_f64_e64 s0, 0, v[11:12]
	s_delay_alu instid0(VALU_DEP_1)
	s_and_b32 s4, vcc_lo, s0
	s_mov_b32 s0, -1
	s_and_saveexec_b32 s1, s4
	s_cbranch_execz .LBB11_6
; %bb.5:
	s_waitcnt vmcnt(0) lgkmcnt(0)
	v_cmp_neq_f64_e32 vcc_lo, 1.0, v[5:6]
	v_cmp_neq_f64_e64 s0, 0, v[7:8]
	s_delay_alu instid0(VALU_DEP_1) | instskip(NEXT) | instid1(SALU_CYCLE_1)
	s_or_b32 s0, vcc_lo, s0
	s_or_not1_b32 s0, s0, exec_lo
.LBB11_6:
	s_or_b32 exec_lo, exec_lo, s1
	s_and_saveexec_b32 s1, s0
	s_cbranch_execz .LBB11_39
; %bb.7:
	s_clause 0x1
	s_load_b128 s[4:7], s[2:3], 0x20
	s_load_b64 s[8:9], s[2:3], 0x30
	s_waitcnt lgkmcnt(0)
	s_cmp_eq_u64 s[4:5], 0
	s_cbranch_scc1 .LBB11_9
; %bb.8:
	s_ashr_i32 s13, s12, 31
	s_delay_alu instid0(SALU_CYCLE_1) | instskip(NEXT) | instid1(SALU_CYCLE_1)
	s_lshl_b64 s[0:1], s[12:13], 2
	s_add_u32 s0, s4, s0
	s_addc_u32 s1, s5, s1
	s_load_b32 s0, s[0:1], 0x0
	s_waitcnt lgkmcnt(0)
	s_sub_i32 s12, s0, s14
.LBB11_9:
	s_load_b32 s1, s[2:3], 0x4
	v_mul_u32_u24_e32 v0, 0x3334, v4
	v_dual_mov_b32 v2, 0 :: v_dual_lshlrev_b32 v13, 4, v4
	v_mov_b32_e32 v3, 0
	s_delay_alu instid0(VALU_DEP_3) | instskip(NEXT) | instid1(VALU_DEP_1)
	v_lshrrev_b32_e32 v15, 16, v0
	v_mul_lo_u16 v0, v15, 5
	s_delay_alu instid0(VALU_DEP_1) | instskip(NEXT) | instid1(VALU_DEP_4)
	v_sub_nc_u16 v19, v4, v0
	v_dual_mov_b32 v0, v2 :: v_dual_mov_b32 v1, v3
	s_waitcnt lgkmcnt(0)
	s_cmp_eq_u32 s1, 1
	s_cselect_b32 s0, -1, 0
	s_cmp_lg_u32 s1, 1
	s_cselect_b32 s15, -1, 0
	s_ashr_i32 s13, s12, 31
	s_delay_alu instid0(SALU_CYCLE_1) | instskip(NEXT) | instid1(SALU_CYCLE_1)
	s_lshl_b64 s[4:5], s[12:13], 3
	s_add_u32 s6, s6, s4
	s_addc_u32 s7, s7, s5
	s_add_u32 s1, s6, 8
	s_addc_u32 s10, s7, 0
	;; [unrolled: 2-line block ×3, first 2 shown]
	s_cmp_eq_u64 s[8:9], 0
	s_cselect_b32 s5, s10, s5
	s_cselect_b32 s4, s1, s4
	s_load_b64 s[8:9], s[6:7], 0x0
	s_load_b64 s[10:11], s[4:5], 0x0
	;; [unrolled: 1-line block ×3, first 2 shown]
	s_waitcnt lgkmcnt(0)
	v_cmp_ge_i64_e64 s1, s[8:9], s[10:11]
	s_delay_alu instid0(VALU_DEP_1)
	s_and_b32 vcc_lo, exec_lo, s1
	s_cbranch_vccnz .LBB11_14
; %bb.10:
	v_mul_lo_u16 v2, v15, 52
	v_dual_mov_b32 v14, 0 :: v_dual_and_b32 v3, 0xffff, v4
	s_clause 0x1
	s_load_b64 s[6:7], s[2:3], 0x48
	s_load_b128 s[16:19], s[2:3], 0x38
	s_sub_u32 s2, s10, s14
	v_lshrrev_b16 v2, 8, v2
	v_mad_u64_u32 v[0:1], null, 0x190, s8, v[13:14]
	v_mul_u32_u24_e32 v3, 0xa3e, v3
	s_mul_i32 s3, s14, 0x190
	s_delay_alu instid0(VALU_DEP_3)
	v_mul_lo_u16 v2, v2, 5
	v_and_b32_e32 v14, 0xffff, v19
	s_mul_hi_u32 s1, s14, 0x190
	v_lshrrev_b32_e32 v20, 16, v3
	v_sub_co_u32 v16, vcc_lo, v0, s3
	v_sub_nc_u16 v15, v15, v2
	v_mad_u64_u32 v[2:3], null, 0x190, s9, v[1:2]
	s_delay_alu instid0(VALU_DEP_4) | instskip(NEXT) | instid1(VALU_DEP_3)
	v_add_co_u32 v3, s10, s8, v20
	v_and_b32_e32 v1, 0xff, v15
	v_add_co_ci_u32_e64 v15, null, s9, 0, s10
	s_subb_u32 s3, s11, 0
	s_delay_alu instid0(VALU_DEP_4)
	v_subrev_co_ci_u32_e32 v2, vcc_lo, s1, v2, vcc_lo
	v_sub_co_u32 v0, vcc_lo, v3, s14
	v_cndmask_b32_e64 v14, v14, v1, s0
	v_subrev_co_ci_u32_e32 v1, vcc_lo, 0, v15, vcc_lo
	s_waitcnt lgkmcnt(0)
	v_add_co_u32 v15, vcc_lo, s18, v16
	v_add_co_ci_u32_e32 v16, vcc_lo, s19, v2, vcc_lo
	v_mov_b32_e32 v2, 0
	v_lshlrev_b64 v[0:1], 2, v[0:1]
	v_mov_b32_e32 v3, 0
	v_add_co_u32 v15, vcc_lo, v15, 8
	v_add_co_ci_u32_e32 v16, vcc_lo, 0, v16, vcc_lo
	s_delay_alu instid0(VALU_DEP_4)
	v_add_co_u32 v17, vcc_lo, s16, v0
	v_add_co_ci_u32_e32 v18, vcc_lo, s17, v1, vcc_lo
	v_dual_mov_b32 v0, v2 :: v_dual_mov_b32 v1, v3
	s_sub_u32 s0, s8, s14
	s_subb_u32 s1, s9, 0
	s_set_inst_prefetch_distance 0x1
	s_branch .LBB11_12
	.p2align	6
.LBB11_11:                              ;   in Loop: Header=BB11_12 Depth=1
	s_or_b32 exec_lo, exec_lo, s8
	s_add_u32 s0, s0, 2
	s_addc_u32 s1, s1, 0
	v_add_co_u32 v15, vcc_lo, 0x320, v15
	v_cmp_ge_i64_e64 s8, s[0:1], s[2:3]
	v_add_co_ci_u32_e32 v16, vcc_lo, 0, v16, vcc_lo
	v_add_co_u32 v17, vcc_lo, v17, 8
	v_add_co_ci_u32_e32 v18, vcc_lo, 0, v18, vcc_lo
	s_delay_alu instid0(VALU_DEP_4)
	s_and_b32 vcc_lo, exec_lo, s8
	s_cbranch_vccnz .LBB11_14
.LBB11_12:                              ; =>This Inner Loop Header: Depth=1
	v_add_co_u32 v21, s8, v20, s0
	s_delay_alu instid0(VALU_DEP_1) | instskip(SKIP_1) | instid1(VALU_DEP_1)
	v_add_co_ci_u32_e64 v22, null, 0, s1, s8
	s_mov_b32 s8, exec_lo
	v_cmpx_gt_i64_e64 s[2:3], v[21:22]
	s_cbranch_execz .LBB11_11
; %bb.13:                               ;   in Loop: Header=BB11_12 Depth=1
	global_load_b32 v21, v[17:18], off
	s_waitcnt vmcnt(0)
	v_subrev_nc_u32_e32 v23, s14, v21
	s_delay_alu instid0(VALU_DEP_1) | instskip(NEXT) | instid1(VALU_DEP_1)
	v_mad_u64_u32 v[21:22], null, v23, 5, v[14:15]
	v_ashrrev_i32_e32 v22, 31, v21
	s_delay_alu instid0(VALU_DEP_1) | instskip(NEXT) | instid1(VALU_DEP_1)
	v_lshlrev_b64 v[21:22], 4, v[21:22]
	v_add_co_u32 v25, vcc_lo, s6, v21
	s_delay_alu instid0(VALU_DEP_2)
	v_add_co_ci_u32_e32 v26, vcc_lo, s7, v22, vcc_lo
	global_load_b128 v[21:24], v[15:16], off offset:-8
	global_load_b128 v[25:28], v[25:26], off
	s_waitcnt vmcnt(0)
	v_fma_f64 v[0:1], v[21:22], v[25:26], v[0:1]
	v_fma_f64 v[2:3], v[23:24], v[25:26], v[2:3]
	s_delay_alu instid0(VALU_DEP_2) | instskip(NEXT) | instid1(VALU_DEP_2)
	v_fma_f64 v[0:1], -v[23:24], v[27:28], v[0:1]
	v_fma_f64 v[2:3], v[21:22], v[27:28], v[2:3]
	s_branch .LBB11_11
.LBB11_14:
	s_set_inst_prefetch_distance 0x2
	s_and_b32 vcc_lo, exec_lo, s15
	ds_store_b128 v13, v[0:3]
	s_waitcnt vmcnt(0) lgkmcnt(0)
	buffer_gl0_inv
	s_cbranch_vccz .LBB11_24
; %bb.15:
	s_mov_b32 s0, exec_lo
	v_cmpx_gt_u32_e32 25, v4
	s_cbranch_execz .LBB11_17
; %bb.16:
	ds_load_b128 v[14:17], v13 offset:400
	ds_load_b128 v[20:23], v13
	s_waitcnt lgkmcnt(0)
	v_add_f64 v[14:15], v[14:15], v[20:21]
	v_add_f64 v[16:17], v[16:17], v[22:23]
	ds_store_b128 v13, v[14:17]
.LBB11_17:
	s_or_b32 exec_lo, exec_lo, s0
	s_delay_alu instid0(SALU_CYCLE_1)
	s_mov_b32 s0, exec_lo
	s_waitcnt lgkmcnt(0)
	buffer_gl0_inv
	v_cmpx_eq_u16_e32 0, v19
	s_cbranch_execz .LBB11_19
; %bb.18:
	ds_load_b128 v[14:17], v13 offset:64
	ds_load_b128 v[20:23], v13
	s_waitcnt lgkmcnt(0)
	v_add_f64 v[14:15], v[14:15], v[20:21]
	v_add_f64 v[16:17], v[16:17], v[22:23]
	ds_store_b128 v13, v[14:17]
.LBB11_19:
	s_or_b32 exec_lo, exec_lo, s0
	s_delay_alu instid0(SALU_CYCLE_1)
	s_mov_b32 s0, exec_lo
	s_waitcnt lgkmcnt(0)
	buffer_gl0_inv
	v_cmpx_gt_u16_e32 2, v19
	s_cbranch_execz .LBB11_21
; %bb.20:
	ds_load_b128 v[14:17], v13
	ds_load_b128 v[18:21], v13 offset:32
	s_waitcnt lgkmcnt(0)
	v_add_f64 v[14:15], v[18:19], v[14:15]
	v_add_f64 v[16:17], v[20:21], v[16:17]
	ds_store_b128 v13, v[14:17]
.LBB11_21:
	s_or_b32 exec_lo, exec_lo, s0
	v_dual_mov_b32 v17, v3 :: v_dual_mov_b32 v16, v2
	v_dual_mov_b32 v15, v1 :: v_dual_mov_b32 v14, v0
	s_mov_b32 s0, exec_lo
	s_waitcnt lgkmcnt(0)
	buffer_gl0_inv
	v_cmpx_gt_u32_e32 5, v4
	s_cbranch_execz .LBB11_23
; %bb.22:
	v_lshl_add_u32 v18, v4, 6, v13
	ds_load_b128 v[14:17], v18
	ds_load_b128 v[18:21], v18 offset:16
	s_waitcnt lgkmcnt(0)
	v_add_f64 v[14:15], v[18:19], v[14:15]
	v_add_f64 v[16:17], v[20:21], v[16:17]
.LBB11_23:
	s_or_b32 exec_lo, exec_lo, s0
	s_branch .LBB11_34
.LBB11_24:
                                        ; implicit-def: $vgpr16_vgpr17
                                        ; implicit-def: $vgpr14_vgpr15
	s_cbranch_execz .LBB11_34
; %bb.25:
	v_cmp_gt_u32_e32 vcc_lo, 10, v4
	s_and_saveexec_b32 s0, vcc_lo
	s_cbranch_execz .LBB11_27
; %bb.26:
	ds_load_b128 v[14:17], v13 offset:640
	ds_load_b128 v[18:21], v13
	s_waitcnt lgkmcnt(0)
	v_add_f64 v[14:15], v[14:15], v[18:19]
	v_add_f64 v[16:17], v[16:17], v[20:21]
	ds_store_b128 v13, v[14:17]
.LBB11_27:
	s_or_b32 exec_lo, exec_lo, s0
	s_delay_alu instid0(SALU_CYCLE_1)
	s_mov_b32 s1, exec_lo
	s_waitcnt lgkmcnt(0)
	buffer_gl0_inv
	v_cmpx_gt_u32_e32 20, v4
	s_cbranch_execz .LBB11_29
; %bb.28:
	ds_load_b128 v[14:17], v13 offset:320
	ds_load_b128 v[18:21], v13
	s_waitcnt lgkmcnt(0)
	v_add_f64 v[14:15], v[14:15], v[18:19]
	v_add_f64 v[16:17], v[16:17], v[20:21]
	ds_store_b128 v13, v[14:17]
.LBB11_29:
	s_or_b32 exec_lo, exec_lo, s1
	s_waitcnt lgkmcnt(0)
	buffer_gl0_inv
	s_and_saveexec_b32 s0, vcc_lo
	s_cbranch_execz .LBB11_31
; %bb.30:
	ds_load_b128 v[14:17], v13 offset:160
	ds_load_b128 v[18:21], v13
	s_waitcnt lgkmcnt(0)
	v_add_f64 v[14:15], v[14:15], v[18:19]
	v_add_f64 v[16:17], v[16:17], v[20:21]
	ds_store_b128 v13, v[14:17]
.LBB11_31:
	s_or_b32 exec_lo, exec_lo, s0
	s_delay_alu instid0(SALU_CYCLE_1)
	s_mov_b32 s0, exec_lo
	s_waitcnt lgkmcnt(0)
	buffer_gl0_inv
	v_cmpx_gt_u32_e32 5, v4
	s_cbranch_execz .LBB11_33
; %bb.32:
	ds_load_b128 v[0:3], v13 offset:80
	ds_load_b128 v[13:16], v13
	s_waitcnt lgkmcnt(0)
	v_add_f64 v[0:1], v[0:1], v[13:14]
	v_add_f64 v[2:3], v[2:3], v[15:16]
.LBB11_33:
	s_or_b32 exec_lo, exec_lo, s0
	s_delay_alu instid0(VALU_DEP_1) | instskip(NEXT) | instid1(VALU_DEP_3)
	v_dual_mov_b32 v17, v3 :: v_dual_mov_b32 v16, v2
	v_dual_mov_b32 v15, v1 :: v_dual_mov_b32 v14, v0
.LBB11_34:
	v_cmp_gt_u32_e32 vcc_lo, 5, v4
	s_and_b32 exec_lo, exec_lo, vcc_lo
	s_cbranch_execz .LBB11_39
; %bb.35:
	s_delay_alu instid0(VALU_DEP_2) | instskip(SKIP_3) | instid1(VALU_DEP_4)
	v_mul_f64 v[0:1], v[16:17], -v[11:12]
	v_mul_f64 v[2:3], v[9:10], v[16:17]
	v_cmp_eq_f64_e32 vcc_lo, 0, v[5:6]
	v_cmp_eq_f64_e64 s0, 0, v[7:8]
	v_fma_f64 v[0:1], v[9:10], v[14:15], v[0:1]
	s_delay_alu instid0(VALU_DEP_4) | instskip(NEXT) | instid1(VALU_DEP_3)
	v_fma_f64 v[2:3], v[11:12], v[14:15], v[2:3]
	s_and_b32 s0, vcc_lo, s0
	s_delay_alu instid0(SALU_CYCLE_1) | instskip(NEXT) | instid1(SALU_CYCLE_1)
	s_and_saveexec_b32 s1, s0
	s_xor_b32 s0, exec_lo, s1
	s_cbranch_execz .LBB11_37
; %bb.36:
	v_mad_u64_u32 v[5:6], null, s12, 5, v[4:5]
	v_mov_b32_e32 v6, 0
                                        ; implicit-def: $vgpr7_vgpr8
	s_delay_alu instid0(VALU_DEP_1) | instskip(NEXT) | instid1(VALU_DEP_1)
	v_lshlrev_b64 v[4:5], 4, v[5:6]
	v_add_co_u32 v4, vcc_lo, s4, v4
	s_delay_alu instid0(VALU_DEP_2)
	v_add_co_ci_u32_e32 v5, vcc_lo, s5, v5, vcc_lo
	global_store_b128 v[4:5], v[0:3], off
                                        ; implicit-def: $vgpr4
                                        ; implicit-def: $vgpr5_vgpr6
                                        ; implicit-def: $vgpr0_vgpr1
.LBB11_37:
	s_and_not1_saveexec_b32 s0, s0
	s_cbranch_execz .LBB11_39
; %bb.38:
	v_mad_u64_u32 v[9:10], null, s12, 5, v[4:5]
	v_mov_b32_e32 v10, 0
	s_delay_alu instid0(VALU_DEP_1) | instskip(NEXT) | instid1(VALU_DEP_1)
	v_lshlrev_b64 v[9:10], 4, v[9:10]
	v_add_co_u32 v13, vcc_lo, s4, v9
	s_delay_alu instid0(VALU_DEP_2) | instskip(SKIP_4) | instid1(VALU_DEP_2)
	v_add_co_ci_u32_e32 v14, vcc_lo, s5, v10, vcc_lo
	global_load_b128 v[9:12], v[13:14], off
	s_waitcnt vmcnt(0)
	v_fma_f64 v[0:1], v[5:6], v[9:10], v[0:1]
	v_fma_f64 v[2:3], v[7:8], v[9:10], v[2:3]
	v_fma_f64 v[0:1], -v[7:8], v[11:12], v[0:1]
	s_delay_alu instid0(VALU_DEP_2)
	v_fma_f64 v[2:3], v[5:6], v[11:12], v[2:3]
	global_store_b128 v[13:14], v[0:3], off
.LBB11_39:
	s_nop 0
	s_sendmsg sendmsg(MSG_DEALLOC_VGPRS)
	s_endpgm
	.section	.rodata,"a",@progbits
	.p2align	6, 0x0
	.amdhsa_kernel _ZN9rocsparseL18bsrxmvn_5x5_kernelILj50E21rocsparse_complex_numIdEliS2_S2_S2_EEvT2_20rocsparse_direction_NS_24const_host_device_scalarIT0_EES3_PKS3_PKT1_SC_S9_PKT3_PKT4_S7_PT5_21rocsparse_index_base_b
		.amdhsa_group_segment_fixed_size 1600
		.amdhsa_private_segment_fixed_size 0
		.amdhsa_kernarg_size 112
		.amdhsa_user_sgpr_count 15
		.amdhsa_user_sgpr_dispatch_ptr 1
		.amdhsa_user_sgpr_queue_ptr 0
		.amdhsa_user_sgpr_kernarg_segment_ptr 1
		.amdhsa_user_sgpr_dispatch_id 0
		.amdhsa_user_sgpr_private_segment_size 0
		.amdhsa_wavefront_size32 1
		.amdhsa_uses_dynamic_stack 0
		.amdhsa_enable_private_segment 0
		.amdhsa_system_sgpr_workgroup_id_x 1
		.amdhsa_system_sgpr_workgroup_id_y 0
		.amdhsa_system_sgpr_workgroup_id_z 0
		.amdhsa_system_sgpr_workgroup_info 0
		.amdhsa_system_vgpr_workitem_id 2
		.amdhsa_next_free_vgpr 29
		.amdhsa_next_free_sgpr 20
		.amdhsa_reserve_vcc 1
		.amdhsa_float_round_mode_32 0
		.amdhsa_float_round_mode_16_64 0
		.amdhsa_float_denorm_mode_32 3
		.amdhsa_float_denorm_mode_16_64 3
		.amdhsa_dx10_clamp 1
		.amdhsa_ieee_mode 1
		.amdhsa_fp16_overflow 0
		.amdhsa_workgroup_processor_mode 1
		.amdhsa_memory_ordered 1
		.amdhsa_forward_progress 0
		.amdhsa_shared_vgpr_count 0
		.amdhsa_exception_fp_ieee_invalid_op 0
		.amdhsa_exception_fp_denorm_src 0
		.amdhsa_exception_fp_ieee_div_zero 0
		.amdhsa_exception_fp_ieee_overflow 0
		.amdhsa_exception_fp_ieee_underflow 0
		.amdhsa_exception_fp_ieee_inexact 0
		.amdhsa_exception_int_div_zero 0
	.end_amdhsa_kernel
	.section	.text._ZN9rocsparseL18bsrxmvn_5x5_kernelILj50E21rocsparse_complex_numIdEliS2_S2_S2_EEvT2_20rocsparse_direction_NS_24const_host_device_scalarIT0_EES3_PKS3_PKT1_SC_S9_PKT3_PKT4_S7_PT5_21rocsparse_index_base_b,"axG",@progbits,_ZN9rocsparseL18bsrxmvn_5x5_kernelILj50E21rocsparse_complex_numIdEliS2_S2_S2_EEvT2_20rocsparse_direction_NS_24const_host_device_scalarIT0_EES3_PKS3_PKT1_SC_S9_PKT3_PKT4_S7_PT5_21rocsparse_index_base_b,comdat
.Lfunc_end11:
	.size	_ZN9rocsparseL18bsrxmvn_5x5_kernelILj50E21rocsparse_complex_numIdEliS2_S2_S2_EEvT2_20rocsparse_direction_NS_24const_host_device_scalarIT0_EES3_PKS3_PKT1_SC_S9_PKT3_PKT4_S7_PT5_21rocsparse_index_base_b, .Lfunc_end11-_ZN9rocsparseL18bsrxmvn_5x5_kernelILj50E21rocsparse_complex_numIdEliS2_S2_S2_EEvT2_20rocsparse_direction_NS_24const_host_device_scalarIT0_EES3_PKS3_PKT1_SC_S9_PKT3_PKT4_S7_PT5_21rocsparse_index_base_b
                                        ; -- End function
	.section	.AMDGPU.csdata,"",@progbits
; Kernel info:
; codeLenInByte = 1972
; NumSgprs: 22
; NumVgprs: 29
; ScratchSize: 0
; MemoryBound: 0
; FloatMode: 240
; IeeeMode: 1
; LDSByteSize: 1600 bytes/workgroup (compile time only)
; SGPRBlocks: 2
; VGPRBlocks: 3
; NumSGPRsForWavesPerEU: 22
; NumVGPRsForWavesPerEU: 29
; Occupancy: 16
; WaveLimiterHint : 1
; COMPUTE_PGM_RSRC2:SCRATCH_EN: 0
; COMPUTE_PGM_RSRC2:USER_SGPR: 15
; COMPUTE_PGM_RSRC2:TRAP_HANDLER: 0
; COMPUTE_PGM_RSRC2:TGID_X_EN: 1
; COMPUTE_PGM_RSRC2:TGID_Y_EN: 0
; COMPUTE_PGM_RSRC2:TGID_Z_EN: 0
; COMPUTE_PGM_RSRC2:TIDIG_COMP_CNT: 2
	.section	.text._ZN9rocsparseL18bsrxmvn_5x5_kernelILj50EfllfffEEvT2_20rocsparse_direction_NS_24const_host_device_scalarIT0_EES1_PKS1_PKT1_SA_S7_PKT3_PKT4_S5_PT5_21rocsparse_index_base_b,"axG",@progbits,_ZN9rocsparseL18bsrxmvn_5x5_kernelILj50EfllfffEEvT2_20rocsparse_direction_NS_24const_host_device_scalarIT0_EES1_PKS1_PKT1_SA_S7_PKT3_PKT4_S5_PT5_21rocsparse_index_base_b,comdat
	.globl	_ZN9rocsparseL18bsrxmvn_5x5_kernelILj50EfllfffEEvT2_20rocsparse_direction_NS_24const_host_device_scalarIT0_EES1_PKS1_PKT1_SA_S7_PKT3_PKT4_S5_PT5_21rocsparse_index_base_b ; -- Begin function _ZN9rocsparseL18bsrxmvn_5x5_kernelILj50EfllfffEEvT2_20rocsparse_direction_NS_24const_host_device_scalarIT0_EES1_PKS1_PKT1_SA_S7_PKT3_PKT4_S5_PT5_21rocsparse_index_base_b
	.p2align	8
	.type	_ZN9rocsparseL18bsrxmvn_5x5_kernelILj50EfllfffEEvT2_20rocsparse_direction_NS_24const_host_device_scalarIT0_EES1_PKS1_PKT1_SA_S7_PKT3_PKT4_S5_PT5_21rocsparse_index_base_b,@function
_ZN9rocsparseL18bsrxmvn_5x5_kernelILj50EfllfffEEvT2_20rocsparse_direction_NS_24const_host_device_scalarIT0_EES1_PKS1_PKT1_SA_S7_PKT3_PKT4_S5_PT5_21rocsparse_index_base_b: ; @_ZN9rocsparseL18bsrxmvn_5x5_kernelILj50EfllfffEEvT2_20rocsparse_direction_NS_24const_host_device_scalarIT0_EES1_PKS1_PKT1_SA_S7_PKT3_PKT4_S5_PT5_21rocsparse_index_base_b
; %bb.0:
	s_mov_b32 s10, s15
	s_clause 0x2
	s_load_b64 s[14:15], s[0:1], 0x60
	s_load_b64 s[12:13], s[0:1], 0x10
	;; [unrolled: 1-line block ×3, first 2 shown]
	s_waitcnt lgkmcnt(0)
	s_bitcmp1_b32 s15, 0
	s_cselect_b32 s2, -1, 0
	s_delay_alu instid0(SALU_CYCLE_1)
	s_and_b32 vcc_lo, exec_lo, s2
	s_xor_b32 s2, s2, -1
	s_cbranch_vccnz .LBB12_2
; %bb.1:
	s_load_b32 s12, s[12:13], 0x0
.LBB12_2:
	s_and_not1_b32 vcc_lo, exec_lo, s2
	s_cbranch_vccnz .LBB12_4
; %bb.3:
	s_load_b32 s8, s[8:9], 0x0
.LBB12_4:
	s_waitcnt lgkmcnt(0)
	v_cmp_neq_f32_e64 s2, s12, 0
	v_cmp_neq_f32_e64 s3, s8, 1.0
	s_mov_b32 s11, 0
	s_delay_alu instid0(VALU_DEP_1) | instskip(NEXT) | instid1(SALU_CYCLE_1)
	s_or_b32 s2, s2, s3
	s_and_not1_b32 vcc_lo, exec_lo, s2
	s_cbranch_vccnz .LBB12_41
; %bb.5:
	s_clause 0x1
	s_load_b128 s[4:7], s[0:1], 0x20
	s_load_b64 s[16:17], s[0:1], 0x30
	s_waitcnt lgkmcnt(0)
	s_cmp_eq_u64 s[4:5], 0
	s_cbranch_scc1 .LBB12_7
; %bb.6:
	s_lshl_b64 s[2:3], s[10:11], 3
	s_delay_alu instid0(SALU_CYCLE_1)
	s_add_u32 s2, s4, s2
	s_addc_u32 s3, s5, s3
	s_load_b64 s[2:3], s[2:3], 0x0
	s_waitcnt lgkmcnt(0)
	s_sub_u32 s10, s2, s14
	s_subb_u32 s11, s3, 0
.LBB12_7:
	s_load_b32 s3, s[0:1], 0x8
	v_mul_u32_u24_e32 v1, 0x3334, v0
	s_delay_alu instid0(VALU_DEP_1) | instskip(NEXT) | instid1(VALU_DEP_1)
	v_lshrrev_b32_e32 v2, 16, v1
	v_mul_lo_u16 v3, v2, 5
	s_waitcnt lgkmcnt(0)
	s_cmp_eq_u32 s3, 1
	s_cselect_b32 s2, -1, 0
	s_cmp_lg_u32 s3, 1
	s_cselect_b32 s9, -1, 0
	s_lshl_b64 s[4:5], s[10:11], 3
	s_delay_alu instid0(SALU_CYCLE_1)
	s_add_u32 s6, s6, s4
	s_addc_u32 s7, s7, s5
	s_add_u32 s3, s6, 8
	s_addc_u32 s13, s7, 0
	;; [unrolled: 2-line block ×3, first 2 shown]
	s_cmp_eq_u64 s[16:17], 0
	s_cselect_b32 s5, s13, s5
	s_cselect_b32 s4, s3, s4
	s_load_b64 s[6:7], s[6:7], 0x0
	s_load_b64 s[16:17], s[4:5], 0x0
	s_waitcnt lgkmcnt(0)
	v_cmp_lt_i64_e64 s3, s[6:7], s[16:17]
	s_delay_alu instid0(VALU_DEP_1)
	s_and_b32 vcc_lo, exec_lo, s3
	s_cbranch_vccnz .LBB12_9
; %bb.8:
	v_mov_b32_e32 v1, 0
	s_mov_b32 s3, 0
	s_branch .LBB12_10
.LBB12_9:
	s_mov_b32 s3, -1
.LBB12_10:
	s_load_b64 s[4:5], s[0:1], 0x58
	v_cndmask_b32_e64 v4, 0, 1, s3
	v_sub_nc_u16 v10, v0, v3
	v_dual_mov_b32 v9, s3 :: v_dual_lshlrev_b32 v8, 2, v0
	s_delay_alu instid0(VALU_DEP_3)
	v_cmp_ne_u32_e32 vcc_lo, 1, v4
	s_cbranch_vccnz .LBB12_15
; %bb.11:
	v_mul_lo_u16 v3, v2, 52
	v_mov_b32_e32 v1, 0
	v_and_b32_e32 v9, 0xffff, v0
	s_clause 0x1
	s_load_b64 s[18:19], s[0:1], 0x48
	s_load_b128 s[20:23], s[0:1], 0x38
	v_lshrrev_b16 v5, 8, v3
	v_dual_mov_b32 v4, v1 :: v_dual_lshlrev_b32 v3, 2, v0
	s_mul_hi_u32 s1, s14, 0x64
	s_sub_u32 s0, s16, s14
	s_delay_alu instid0(VALU_DEP_2) | instskip(NEXT) | instid1(VALU_DEP_2)
	v_mul_lo_u16 v7, v5, 5
	v_mad_u64_u32 v[5:6], null, 0x64, s6, v[3:4]
	v_mul_u32_u24_e32 v4, 0xa3e, v9
	s_delay_alu instid0(VALU_DEP_3) | instskip(SKIP_1) | instid1(VALU_DEP_3)
	v_sub_nc_u16 v2, v2, v7
	v_and_b32_e32 v3, 0xffff, v10
	v_lshrrev_b32_e32 v11, 16, v4
	s_delay_alu instid0(VALU_DEP_3) | instskip(NEXT) | instid1(VALU_DEP_1)
	v_dual_mov_b32 v2, v6 :: v_dual_and_b32 v7, 0xff, v2
	v_cndmask_b32_e64 v6, v3, v7, s2
	s_delay_alu instid0(VALU_DEP_2) | instskip(NEXT) | instid1(VALU_DEP_4)
	v_mad_u64_u32 v[3:4], null, 0x64, s7, v[2:3]
	v_add_co_u32 v4, s3, s6, v11
	s_delay_alu instid0(VALU_DEP_1) | instskip(NEXT) | instid1(VALU_DEP_4)
	v_add_co_ci_u32_e64 v7, null, s7, 0, s3
	v_lshlrev_b32_e32 v2, 2, v6
	s_delay_alu instid0(VALU_DEP_3) | instskip(SKIP_1) | instid1(VALU_DEP_4)
	v_sub_co_u32 v6, vcc_lo, v4, s14
	v_mov_b32_e32 v9, v3
	v_subrev_co_ci_u32_e32 v7, vcc_lo, 0, v7, vcc_lo
	s_mul_i32 s2, s14, 0x64
	s_waitcnt lgkmcnt(0)
	v_add_co_u32 v2, s3, s18, v2
	v_sub_co_u32 v4, vcc_lo, v5, s2
	v_subrev_co_ci_u32_e32 v5, vcc_lo, s1, v9, vcc_lo
	v_lshlrev_b64 v[6:7], 3, v[6:7]
	s_delay_alu instid0(VALU_DEP_3) | instskip(NEXT) | instid1(VALU_DEP_3)
	v_add_co_u32 v4, vcc_lo, s22, v4
	v_add_co_ci_u32_e32 v5, vcc_lo, s23, v5, vcc_lo
	v_add_co_ci_u32_e64 v3, null, s19, 0, s3
	s_delay_alu instid0(VALU_DEP_4)
	v_add_co_u32 v6, vcc_lo, s20, v6
	v_add_co_ci_u32_e32 v7, vcc_lo, s21, v7, vcc_lo
	v_mov_b32_e32 v9, v1
	s_subb_u32 s1, s17, 0
	s_sub_u32 s2, s6, s14
	s_subb_u32 s3, s7, 0
	s_set_inst_prefetch_distance 0x1
	s_branch .LBB12_13
	.p2align	6
.LBB12_12:                              ;   in Loop: Header=BB12_13 Depth=1
	s_or_b32 exec_lo, exec_lo, s6
	s_add_u32 s2, s2, 2
	s_addc_u32 s3, s3, 0
	v_add_co_u32 v4, vcc_lo, 0xc8, v4
	v_cmp_ge_i64_e64 s6, s[2:3], s[0:1]
	v_add_co_ci_u32_e32 v5, vcc_lo, 0, v5, vcc_lo
	v_add_co_u32 v6, vcc_lo, v6, 16
	v_add_co_ci_u32_e32 v7, vcc_lo, 0, v7, vcc_lo
	s_delay_alu instid0(VALU_DEP_4)
	s_and_b32 vcc_lo, exec_lo, s6
	s_cbranch_vccnz .LBB12_15
.LBB12_13:                              ; =>This Inner Loop Header: Depth=1
	v_add_co_u32 v12, s6, v11, s2
	s_delay_alu instid0(VALU_DEP_1) | instskip(SKIP_1) | instid1(VALU_DEP_1)
	v_add_co_ci_u32_e64 v13, null, 0, s3, s6
	s_mov_b32 s6, exec_lo
	v_cmpx_gt_i64_e64 s[0:1], v[12:13]
	s_cbranch_execz .LBB12_12
; %bb.14:                               ;   in Loop: Header=BB12_13 Depth=1
	global_load_b64 v[12:13], v[6:7], off
	s_waitcnt vmcnt(0)
	v_sub_co_u32 v14, vcc_lo, v12, s14
	v_subrev_co_ci_u32_e32 v16, vcc_lo, 0, v13, vcc_lo
	s_delay_alu instid0(VALU_DEP_2) | instskip(NEXT) | instid1(VALU_DEP_1)
	v_mad_u64_u32 v[12:13], null, v14, 20, v[2:3]
	v_mad_u64_u32 v[14:15], null, v16, 20, v[13:14]
	s_delay_alu instid0(VALU_DEP_1)
	v_mov_b32_e32 v13, v14
	global_load_b32 v14, v[4:5], off
	global_load_b32 v12, v[12:13], off
	s_waitcnt vmcnt(0)
	v_fmac_f32_e32 v9, v14, v12
	s_branch .LBB12_12
.LBB12_15:
	s_set_inst_prefetch_distance 0x2
	s_and_b32 vcc_lo, exec_lo, s9
	ds_store_b32 v8, v9
	s_waitcnt lgkmcnt(0)
	buffer_gl0_inv
	s_cbranch_vccz .LBB12_25
; %bb.16:
	s_mov_b32 s0, exec_lo
	v_cmpx_gt_u32_e32 25, v0
	s_cbranch_execz .LBB12_18
; %bb.17:
	ds_load_2addr_b32 v[2:3], v8 offset1:25
	s_waitcnt lgkmcnt(0)
	v_add_f32_e32 v2, v3, v2
	ds_store_b32 v8, v2
.LBB12_18:
	s_or_b32 exec_lo, exec_lo, s0
	s_delay_alu instid0(SALU_CYCLE_1)
	s_mov_b32 s0, exec_lo
	s_waitcnt lgkmcnt(0)
	buffer_gl0_inv
	v_cmpx_eq_u16_e32 0, v10
	s_cbranch_execz .LBB12_20
; %bb.19:
	ds_load_2addr_b32 v[2:3], v8 offset1:4
	s_waitcnt lgkmcnt(0)
	v_add_f32_e32 v2, v3, v2
	ds_store_b32 v8, v2
.LBB12_20:
	s_or_b32 exec_lo, exec_lo, s0
	s_delay_alu instid0(SALU_CYCLE_1)
	s_mov_b32 s0, exec_lo
	s_waitcnt lgkmcnt(0)
	buffer_gl0_inv
	v_cmpx_gt_u16_e32 2, v10
	s_cbranch_execz .LBB12_22
; %bb.21:
	ds_load_2addr_b32 v[2:3], v8 offset1:2
	s_waitcnt lgkmcnt(0)
	v_add_f32_e32 v2, v3, v2
	ds_store_b32 v8, v2
.LBB12_22:
	s_or_b32 exec_lo, exec_lo, s0
	s_mov_b32 s0, 0
	s_mov_b32 s1, 0
	s_mov_b32 s2, exec_lo
	s_waitcnt lgkmcnt(0)
	buffer_gl0_inv
                                        ; implicit-def: $vgpr2
                                        ; implicit-def: $vgpr3
	v_cmpx_gt_u32_e32 5, v0
	s_xor_b32 s2, exec_lo, s2
; %bb.23:
	v_mad_u32_u24 v2, v0, 5, 1
	v_lshl_add_u32 v3, v0, 4, v8
	s_mov_b32 s1, exec_lo
; %bb.24:
	s_or_b32 exec_lo, exec_lo, s2
	s_delay_alu instid0(SALU_CYCLE_1)
	s_and_b32 vcc_lo, exec_lo, s0
	s_cbranch_vccnz .LBB12_26
	s_branch .LBB12_35
.LBB12_25:
	s_mov_b32 s1, 0
                                        ; implicit-def: $vgpr2
                                        ; implicit-def: $vgpr3
	s_cbranch_execz .LBB12_35
.LBB12_26:
	v_cmp_gt_u32_e32 vcc_lo, 10, v0
	s_and_saveexec_b32 s0, vcc_lo
	s_cbranch_execz .LBB12_28
; %bb.27:
	ds_load_2addr_b32 v[2:3], v8 offset1:40
	s_waitcnt lgkmcnt(0)
	v_add_f32_e32 v2, v3, v2
	ds_store_b32 v8, v2
.LBB12_28:
	s_or_b32 exec_lo, exec_lo, s0
	s_delay_alu instid0(SALU_CYCLE_1)
	s_mov_b32 s2, exec_lo
	s_waitcnt lgkmcnt(0)
	buffer_gl0_inv
	v_cmpx_gt_u32_e32 20, v0
	s_cbranch_execz .LBB12_30
; %bb.29:
	ds_load_2addr_b32 v[2:3], v8 offset1:20
	s_waitcnt lgkmcnt(0)
	v_add_f32_e32 v2, v3, v2
	ds_store_b32 v8, v2
.LBB12_30:
	s_or_b32 exec_lo, exec_lo, s2
	s_waitcnt lgkmcnt(0)
	buffer_gl0_inv
	s_and_saveexec_b32 s0, vcc_lo
	s_cbranch_execz .LBB12_32
; %bb.31:
	ds_load_2addr_b32 v[2:3], v8 offset1:10
	s_waitcnt lgkmcnt(0)
	v_add_f32_e32 v2, v3, v2
	ds_store_b32 v8, v2
.LBB12_32:
	s_or_b32 exec_lo, exec_lo, s0
	s_delay_alu instid0(SALU_CYCLE_1)
	s_mov_b32 s0, exec_lo
	s_waitcnt lgkmcnt(0)
	buffer_gl0_inv
                                        ; implicit-def: $vgpr2
	v_cmpx_gt_u32_e32 5, v0
; %bb.33:
	v_add_nc_u32_e32 v2, 5, v0
	s_or_b32 s1, s1, exec_lo
                                        ; implicit-def: $vgpr9
; %bb.34:
	s_or_b32 exec_lo, exec_lo, s0
	v_mov_b32_e32 v3, v8
.LBB12_35:
	s_and_saveexec_b32 s0, s1
	s_cbranch_execz .LBB12_37
; %bb.36:
	v_lshlrev_b32_e32 v2, 2, v2
	ds_load_b32 v3, v3
	ds_load_b32 v2, v2
	s_waitcnt lgkmcnt(0)
	v_add_f32_e32 v9, v3, v2
.LBB12_37:
	s_or_b32 exec_lo, exec_lo, s0
	s_delay_alu instid0(SALU_CYCLE_1)
	s_mov_b32 s0, exec_lo
	v_cmpx_gt_u32_e32 5, v0
	s_cbranch_execz .LBB12_41
; %bb.38:
	v_cmp_eq_f32_e64 s2, s8, 0
	v_lshlrev_b64 v[0:1], 2, v[0:1]
	v_mul_f32_e32 v2, s12, v9
	s_mov_b32 s1, 0
	s_mul_i32 s0, s11, 20
	s_and_b32 vcc_lo, exec_lo, s2
	s_mul_hi_u32 s2, s10, 20
	s_mul_i32 s3, s10, 20
	s_cbranch_vccz .LBB12_42
; %bb.39:
	s_add_i32 s6, s2, s0
	s_add_u32 s7, s4, s3
	s_addc_u32 s6, s5, s6
	v_add_co_u32 v3, vcc_lo, s7, v0
	v_add_co_ci_u32_e32 v4, vcc_lo, s6, v1, vcc_lo
	global_store_b32 v[3:4], v2, off
	s_and_not1_b32 vcc_lo, exec_lo, s1
	s_cbranch_vccnz .LBB12_41
.LBB12_40:
	s_add_i32 s2, s2, s0
	s_add_u32 s0, s4, s3
	s_addc_u32 s1, s5, s2
	v_add_co_u32 v0, vcc_lo, s0, v0
	v_add_co_ci_u32_e32 v1, vcc_lo, s1, v1, vcc_lo
	global_load_b32 v3, v[0:1], off
	s_waitcnt vmcnt(0)
	v_fmac_f32_e32 v2, s8, v3
	global_store_b32 v[0:1], v2, off
.LBB12_41:
	s_nop 0
	s_sendmsg sendmsg(MSG_DEALLOC_VGPRS)
	s_endpgm
.LBB12_42:
	s_branch .LBB12_40
	.section	.rodata,"a",@progbits
	.p2align	6, 0x0
	.amdhsa_kernel _ZN9rocsparseL18bsrxmvn_5x5_kernelILj50EfllfffEEvT2_20rocsparse_direction_NS_24const_host_device_scalarIT0_EES1_PKS1_PKT1_SA_S7_PKT3_PKT4_S5_PT5_21rocsparse_index_base_b
		.amdhsa_group_segment_fixed_size 200
		.amdhsa_private_segment_fixed_size 0
		.amdhsa_kernarg_size 104
		.amdhsa_user_sgpr_count 15
		.amdhsa_user_sgpr_dispatch_ptr 0
		.amdhsa_user_sgpr_queue_ptr 0
		.amdhsa_user_sgpr_kernarg_segment_ptr 1
		.amdhsa_user_sgpr_dispatch_id 0
		.amdhsa_user_sgpr_private_segment_size 0
		.amdhsa_wavefront_size32 1
		.amdhsa_uses_dynamic_stack 0
		.amdhsa_enable_private_segment 0
		.amdhsa_system_sgpr_workgroup_id_x 1
		.amdhsa_system_sgpr_workgroup_id_y 0
		.amdhsa_system_sgpr_workgroup_id_z 0
		.amdhsa_system_sgpr_workgroup_info 0
		.amdhsa_system_vgpr_workitem_id 0
		.amdhsa_next_free_vgpr 17
		.amdhsa_next_free_sgpr 24
		.amdhsa_reserve_vcc 1
		.amdhsa_float_round_mode_32 0
		.amdhsa_float_round_mode_16_64 0
		.amdhsa_float_denorm_mode_32 3
		.amdhsa_float_denorm_mode_16_64 3
		.amdhsa_dx10_clamp 1
		.amdhsa_ieee_mode 1
		.amdhsa_fp16_overflow 0
		.amdhsa_workgroup_processor_mode 1
		.amdhsa_memory_ordered 1
		.amdhsa_forward_progress 0
		.amdhsa_shared_vgpr_count 0
		.amdhsa_exception_fp_ieee_invalid_op 0
		.amdhsa_exception_fp_denorm_src 0
		.amdhsa_exception_fp_ieee_div_zero 0
		.amdhsa_exception_fp_ieee_overflow 0
		.amdhsa_exception_fp_ieee_underflow 0
		.amdhsa_exception_fp_ieee_inexact 0
		.amdhsa_exception_int_div_zero 0
	.end_amdhsa_kernel
	.section	.text._ZN9rocsparseL18bsrxmvn_5x5_kernelILj50EfllfffEEvT2_20rocsparse_direction_NS_24const_host_device_scalarIT0_EES1_PKS1_PKT1_SA_S7_PKT3_PKT4_S5_PT5_21rocsparse_index_base_b,"axG",@progbits,_ZN9rocsparseL18bsrxmvn_5x5_kernelILj50EfllfffEEvT2_20rocsparse_direction_NS_24const_host_device_scalarIT0_EES1_PKS1_PKT1_SA_S7_PKT3_PKT4_S5_PT5_21rocsparse_index_base_b,comdat
.Lfunc_end12:
	.size	_ZN9rocsparseL18bsrxmvn_5x5_kernelILj50EfllfffEEvT2_20rocsparse_direction_NS_24const_host_device_scalarIT0_EES1_PKS1_PKT1_SA_S7_PKT3_PKT4_S5_PT5_21rocsparse_index_base_b, .Lfunc_end12-_ZN9rocsparseL18bsrxmvn_5x5_kernelILj50EfllfffEEvT2_20rocsparse_direction_NS_24const_host_device_scalarIT0_EES1_PKS1_PKT1_SA_S7_PKT3_PKT4_S5_PT5_21rocsparse_index_base_b
                                        ; -- End function
	.section	.AMDGPU.csdata,"",@progbits
; Kernel info:
; codeLenInByte = 1528
; NumSgprs: 26
; NumVgprs: 17
; ScratchSize: 0
; MemoryBound: 0
; FloatMode: 240
; IeeeMode: 1
; LDSByteSize: 200 bytes/workgroup (compile time only)
; SGPRBlocks: 3
; VGPRBlocks: 2
; NumSGPRsForWavesPerEU: 26
; NumVGPRsForWavesPerEU: 17
; Occupancy: 16
; WaveLimiterHint : 1
; COMPUTE_PGM_RSRC2:SCRATCH_EN: 0
; COMPUTE_PGM_RSRC2:USER_SGPR: 15
; COMPUTE_PGM_RSRC2:TRAP_HANDLER: 0
; COMPUTE_PGM_RSRC2:TGID_X_EN: 1
; COMPUTE_PGM_RSRC2:TGID_Y_EN: 0
; COMPUTE_PGM_RSRC2:TGID_Z_EN: 0
; COMPUTE_PGM_RSRC2:TIDIG_COMP_CNT: 0
	.section	.text._ZN9rocsparseL19sbsrxmvn_5x5_kernelILj256EL20rocsparse_direction_0EllEEvT2_NS_24const_host_device_scalarIfEES2_PKS2_PKT1_S9_S6_PKfSB_S4_Pf21rocsparse_index_base_b,"axG",@progbits,_ZN9rocsparseL19sbsrxmvn_5x5_kernelILj256EL20rocsparse_direction_0EllEEvT2_NS_24const_host_device_scalarIfEES2_PKS2_PKT1_S9_S6_PKfSB_S4_Pf21rocsparse_index_base_b,comdat
	.globl	_ZN9rocsparseL19sbsrxmvn_5x5_kernelILj256EL20rocsparse_direction_0EllEEvT2_NS_24const_host_device_scalarIfEES2_PKS2_PKT1_S9_S6_PKfSB_S4_Pf21rocsparse_index_base_b ; -- Begin function _ZN9rocsparseL19sbsrxmvn_5x5_kernelILj256EL20rocsparse_direction_0EllEEvT2_NS_24const_host_device_scalarIfEES2_PKS2_PKT1_S9_S6_PKfSB_S4_Pf21rocsparse_index_base_b
	.p2align	8
	.type	_ZN9rocsparseL19sbsrxmvn_5x5_kernelILj256EL20rocsparse_direction_0EllEEvT2_NS_24const_host_device_scalarIfEES2_PKS2_PKT1_S9_S6_PKfSB_S4_Pf21rocsparse_index_base_b,@function
_ZN9rocsparseL19sbsrxmvn_5x5_kernelILj256EL20rocsparse_direction_0EllEEvT2_NS_24const_host_device_scalarIfEES2_PKS2_PKT1_S9_S6_PKfSB_S4_Pf21rocsparse_index_base_b: ; @_ZN9rocsparseL19sbsrxmvn_5x5_kernelILj256EL20rocsparse_direction_0EllEEvT2_NS_24const_host_device_scalarIfEES2_PKS2_PKT1_S9_S6_PKfSB_S4_Pf21rocsparse_index_base_b
; %bb.0:
	s_clause 0x2
	s_load_b64 s[16:17], s[0:1], 0x58
	s_load_b128 s[4:7], s[0:1], 0x0
	s_load_b64 s[12:13], s[0:1], 0x48
	s_waitcnt lgkmcnt(0)
	s_bitcmp1_b32 s17, 0
	s_cselect_b32 s2, -1, 0
	s_delay_alu instid0(SALU_CYCLE_1)
	s_and_b32 vcc_lo, exec_lo, s2
	s_xor_b32 s2, s2, -1
	s_cbranch_vccnz .LBB13_2
; %bb.1:
	s_load_b32 s6, s[6:7], 0x0
.LBB13_2:
	s_and_not1_b32 vcc_lo, exec_lo, s2
	s_cbranch_vccnz .LBB13_4
; %bb.3:
	s_load_b32 s12, s[12:13], 0x0
.LBB13_4:
	s_waitcnt lgkmcnt(0)
	v_cmp_neq_f32_e64 s2, s6, 0
	v_cmp_neq_f32_e64 s3, s12, 1.0
	s_delay_alu instid0(VALU_DEP_1) | instskip(NEXT) | instid1(SALU_CYCLE_1)
	s_or_b32 s2, s2, s3
	s_and_not1_b32 vcc_lo, exec_lo, s2
	s_cbranch_vccnz .LBB13_20
; %bb.5:
	s_clause 0x1
	s_load_b32 s7, s[0:1], 0x6c
	s_load_b64 s[2:3], s[0:1], 0x18
	v_bfe_u32 v3, v0, 10, 10
	s_waitcnt lgkmcnt(0)
	s_lshr_b32 s7, s7, 16
	s_cmp_eq_u64 s[2:3], 0
	s_delay_alu instid0(VALU_DEP_1)
	v_mad_u64_u32 v[1:2], null, s15, s7, v[3:4]
	s_cbranch_scc1 .LBB13_7
; %bb.6:
	s_delay_alu instid0(VALU_DEP_1) | instskip(NEXT) | instid1(VALU_DEP_1)
	v_ashrrev_i32_e32 v2, 31, v1
	v_lshlrev_b64 v[1:2], 3, v[1:2]
	s_delay_alu instid0(VALU_DEP_1) | instskip(NEXT) | instid1(VALU_DEP_2)
	v_add_co_u32 v1, vcc_lo, s2, v1
	v_add_co_ci_u32_e32 v2, vcc_lo, s3, v2, vcc_lo
	global_load_b32 v1, v[1:2], off
	s_waitcnt vmcnt(0)
	v_subrev_nc_u32_e32 v1, s16, v1
.LBB13_7:
	s_delay_alu instid0(VALU_DEP_1) | instskip(SKIP_1) | instid1(VALU_DEP_2)
	v_ashrrev_i32_e32 v2, 31, v1
	v_and_b32_e32 v16, 0x3ff, v0
	v_cmp_gt_i64_e32 vcc_lo, s[4:5], v[1:2]
	s_delay_alu instid0(VALU_DEP_2) | instskip(NEXT) | instid1(VALU_DEP_1)
	v_cmp_gt_u32_e64 s2, 25, v16
	s_and_b32 s2, s2, vcc_lo
	s_delay_alu instid0(SALU_CYCLE_1)
	s_and_saveexec_b32 s3, s2
	s_cbranch_execz .LBB13_20
; %bb.8:
	s_clause 0x1
	s_load_b128 s[8:11], s[0:1], 0x20
	s_load_b64 s[2:3], s[0:1], 0x50
	v_lshlrev_b64 v[2:3], 3, v[1:2]
	s_mov_b32 s4, exec_lo
	v_mov_b32_e32 v17, 0
	s_waitcnt lgkmcnt(0)
	s_delay_alu instid0(VALU_DEP_2) | instskip(NEXT) | instid1(VALU_DEP_3)
	v_add_co_u32 v4, vcc_lo, s8, v2
	v_add_co_ci_u32_e32 v5, vcc_lo, s9, v3, vcc_lo
	v_add_co_u32 v0, vcc_lo, s10, v2
	v_add_co_ci_u32_e32 v2, vcc_lo, s11, v3, vcc_lo
	s_delay_alu instid0(VALU_DEP_4) | instskip(NEXT) | instid1(VALU_DEP_4)
	v_add_co_u32 v6, vcc_lo, v4, 8
	v_add_co_ci_u32_e32 v3, vcc_lo, 0, v5, vcc_lo
	s_cmp_eq_u64 s[10:11], 0
	s_cselect_b32 vcc_lo, -1, 0
	s_delay_alu instid0(VALU_DEP_1) | instskip(SKIP_3) | instid1(VALU_DEP_1)
	v_dual_cndmask_b32 v3, v2, v3 :: v_dual_cndmask_b32 v2, v0, v6
	global_load_b64 v[10:11], v[4:5], off
	global_load_b64 v[2:3], v[2:3], off
	v_mul_u32_u24_e32 v0, 0x3334, v16
	v_lshrrev_b32_e32 v4, 16, v0
	s_delay_alu instid0(VALU_DEP_1) | instskip(NEXT) | instid1(VALU_DEP_1)
	v_mul_lo_u16 v0, v4, 5
	v_sub_nc_u16 v0, v16, v0
	s_delay_alu instid0(VALU_DEP_1)
	v_and_b32_e32 v0, 0xffff, v0
	s_waitcnt vmcnt(0)
	v_cmpx_lt_i64_e64 v[10:11], v[2:3]
	s_cbranch_execz .LBB13_18
; %bb.9:
	v_sub_co_u32 v2, vcc_lo, v2, s16
	v_subrev_co_ci_u32_e32 v3, vcc_lo, 0, v3, vcc_lo
	v_and_b32_e32 v14, 0xffff, v4
	v_sub_co_u32 v4, vcc_lo, v10, s16
	v_subrev_co_ci_u32_e32 v5, vcc_lo, 0, v11, vcc_lo
	s_load_b128 s[8:11], s[0:1], 0x30
	s_delay_alu instid0(VALU_DEP_2) | instskip(NEXT) | instid1(VALU_DEP_2)
	v_add_co_u32 v8, vcc_lo, v4, 1
	v_add_co_ci_u32_e32 v9, vcc_lo, 0, v5, vcc_lo
	v_mul_u32_u24_e32 v6, 5, v0
	s_load_b64 s[0:1], s[0:1], 0x40
	v_mov_b32_e32 v17, 0
	s_delay_alu instid0(VALU_DEP_3)
	v_cmp_gt_i64_e32 vcc_lo, v[8:9], v[2:3]
	s_mov_b32 s17, 0
	v_cndmask_b32_e32 v9, v3, v9, vcc_lo
	v_add_lshl_u32 v6, v6, v14, 2
	v_cndmask_b32_e32 v8, v2, v8, vcc_lo
	s_waitcnt lgkmcnt(0)
	s_delay_alu instid0(VALU_DEP_2) | instskip(NEXT) | instid1(VALU_DEP_1)
	v_add_co_u32 v12, s5, s10, v6
	v_add_co_ci_u32_e64 v13, null, s11, 0, s5
	s_delay_alu instid0(VALU_DEP_3) | instskip(SKIP_2) | instid1(VALU_DEP_4)
	v_add_co_u32 v18, vcc_lo, v8, s16
	v_add_co_ci_u32_e32 v19, vcc_lo, 0, v9, vcc_lo
	v_lshlrev_b32_e32 v9, 2, v14
	v_mad_u64_u32 v[6:7], null, 0x64, v4, v[12:13]
	s_delay_alu instid0(VALU_DEP_4) | instskip(NEXT) | instid1(VALU_DEP_1)
	v_sub_nc_u32_e32 v8, v18, v10
	v_mad_u64_u32 v[13:14], null, 0x64, v5, v[7:8]
	v_and_b32_e32 v12, 3, v8
	v_add_co_u32 v8, s0, s0, v9
	s_delay_alu instid0(VALU_DEP_1) | instskip(SKIP_1) | instid1(VALU_DEP_4)
	v_add_co_ci_u32_e64 v9, null, s1, 0, s0
	s_mov_b32 s1, exec_lo
	v_mov_b32_e32 v7, v13
	v_cmpx_ne_u32_e32 0, v12
	s_cbranch_execz .LBB13_13
; %bb.10:
	v_lshlrev_b64 v[14:15], 3, v[10:11]
	s_lshl_b64 s[10:11], s[16:17], 3
	v_mul_hi_u32_u24_e32 v13, 0x64, v12
	v_mul_u32_u24_e32 v12, 0x64, v12
	v_mov_b32_e32 v17, 0
	s_delay_alu instid0(VALU_DEP_4) | instskip(SKIP_1) | instid1(VALU_DEP_2)
	v_sub_co_u32 v14, vcc_lo, v14, s10
	v_subrev_co_ci_u32_e32 v15, vcc_lo, s11, v15, vcc_lo
	v_add_co_u32 v14, vcc_lo, s8, v14
	s_delay_alu instid0(VALU_DEP_2)
	v_add_co_ci_u32_e32 v15, vcc_lo, s9, v15, vcc_lo
	s_set_inst_prefetch_distance 0x1
	.p2align	6
.LBB13_11:                              ; =>This Inner Loop Header: Depth=1
	global_load_b64 v[20:21], v[14:15], off
	v_add_co_u32 v14, s0, v14, 8
	s_delay_alu instid0(VALU_DEP_1) | instskip(SKIP_3) | instid1(VALU_DEP_2)
	v_add_co_ci_u32_e64 v15, s0, 0, v15, s0
	s_waitcnt vmcnt(0)
	v_sub_co_u32 v22, vcc_lo, v20, s16
	v_subrev_co_ci_u32_e32 v24, vcc_lo, 0, v21, vcc_lo
	v_mad_u64_u32 v[20:21], null, v22, 20, v[8:9]
	s_delay_alu instid0(VALU_DEP_1) | instskip(NEXT) | instid1(VALU_DEP_1)
	v_mad_u64_u32 v[22:23], null, v24, 20, v[21:22]
	v_mov_b32_e32 v21, v22
	global_load_b32 v22, v[6:7], off
	global_load_b32 v20, v[20:21], off
	v_add_co_u32 v6, vcc_lo, 0x64, v6
	v_add_co_ci_u32_e32 v7, vcc_lo, 0, v7, vcc_lo
	v_add_co_u32 v12, vcc_lo, 0xffffff9c, v12
	v_add_co_ci_u32_e32 v13, vcc_lo, -1, v13, vcc_lo
	v_add_co_u32 v4, vcc_lo, v4, 1
	v_add_co_ci_u32_e32 v5, vcc_lo, 0, v5, vcc_lo
	s_delay_alu instid0(VALU_DEP_3)
	v_cmp_eq_u64_e32 vcc_lo, 0, v[12:13]
	s_or_b32 s17, vcc_lo, s17
	s_waitcnt vmcnt(0)
	v_fmac_f32_e32 v17, v22, v20
	s_and_not1_b32 exec_lo, exec_lo, s17
	s_cbranch_execnz .LBB13_11
; %bb.12:
	s_set_inst_prefetch_distance 0x2
	s_or_b32 exec_lo, exec_lo, s17
.LBB13_13:
	s_delay_alu instid0(SALU_CYCLE_1) | instskip(SKIP_3) | instid1(VALU_DEP_1)
	s_or_b32 exec_lo, exec_lo, s1
	v_sub_co_u32 v10, vcc_lo, v10, v18
	v_sub_co_ci_u32_e32 v11, vcc_lo, v11, v19, vcc_lo
	s_mov_b32 s1, exec_lo
	v_cmpx_gt_u64_e32 -3, v[10:11]
	s_cbranch_execz .LBB13_17
; %bb.14:
	v_lshlrev_b64 v[10:11], 3, v[4:5]
	s_mov_b32 s5, 0
	s_delay_alu instid0(VALU_DEP_1) | instskip(NEXT) | instid1(VALU_DEP_2)
	v_add_co_u32 v10, vcc_lo, v10, s8
	v_add_co_ci_u32_e32 v11, vcc_lo, s9, v11, vcc_lo
	s_delay_alu instid0(VALU_DEP_2) | instskip(NEXT) | instid1(VALU_DEP_2)
	v_add_co_u32 v10, vcc_lo, v10, 16
	v_add_co_ci_u32_e32 v11, vcc_lo, 0, v11, vcc_lo
.LBB13_15:                              ; =>This Inner Loop Header: Depth=1
	s_clause 0x1
	global_load_b128 v[12:15], v[10:11], off offset:-16
	global_load_b128 v[18:21], v[10:11], off
	s_clause 0x1
	global_load_b32 v26, v[6:7], off
	global_load_b32 v27, v[6:7], off offset:100
	v_add_co_u32 v10, s0, v10, 32
	s_delay_alu instid0(VALU_DEP_1)
	v_add_co_ci_u32_e64 v11, s0, 0, v11, s0
	s_waitcnt vmcnt(3)
	v_sub_co_u32 v22, vcc_lo, v12, s16
	v_subrev_co_ci_u32_e32 v24, vcc_lo, 0, v13, vcc_lo
	v_sub_co_u32 v23, vcc_lo, v14, s16
	v_subrev_co_ci_u32_e32 v25, vcc_lo, 0, v15, vcc_lo
	s_delay_alu instid0(VALU_DEP_4) | instskip(NEXT) | instid1(VALU_DEP_3)
	v_mad_u64_u32 v[12:13], null, v22, 20, v[8:9]
	v_mad_u64_u32 v[14:15], null, v23, 20, v[8:9]
	s_waitcnt vmcnt(2)
	v_sub_co_u32 v28, vcc_lo, v18, s16
	v_subrev_co_ci_u32_e32 v29, vcc_lo, 0, v19, vcc_lo
	v_sub_co_u32 v30, vcc_lo, v20, s16
	s_delay_alu instid0(VALU_DEP_4) | instskip(SKIP_2) | instid1(VALU_DEP_4)
	v_mad_u64_u32 v[22:23], null, v24, 20, v[13:14]
	v_subrev_co_ci_u32_e32 v31, vcc_lo, 0, v21, vcc_lo
	v_mad_u64_u32 v[18:19], null, v28, 20, v[8:9]
	v_mad_u64_u32 v[20:21], null, v30, 20, v[8:9]
	s_delay_alu instid0(VALU_DEP_4)
	v_mov_b32_e32 v13, v22
	v_mad_u64_u32 v[23:24], null, v25, 20, v[15:16]
	v_add_co_u32 v4, vcc_lo, v4, 4
	global_load_b32 v22, v[12:13], off
	v_mad_u64_u32 v[24:25], null, v29, 20, v[19:20]
	v_add_co_ci_u32_e32 v5, vcc_lo, 0, v5, vcc_lo
	v_mov_b32_e32 v15, v23
	s_delay_alu instid0(VALU_DEP_3)
	v_mov_b32_e32 v19, v24
	s_waitcnt vmcnt(0)
	v_mad_u64_u32 v[12:13], null, v31, 20, v[21:22]
	global_load_b32 v13, v[14:15], off
	global_load_b32 v14, v[6:7], off offset:200
	v_fmac_f32_e32 v17, v26, v22
	v_mov_b32_e32 v21, v12
	global_load_b32 v12, v[18:19], off
	global_load_b32 v15, v[6:7], off offset:300
	global_load_b32 v18, v[20:21], off
	v_add_co_u32 v6, vcc_lo, 0x190, v6
	v_add_co_ci_u32_e32 v7, vcc_lo, 0, v7, vcc_lo
	v_cmp_ge_i64_e32 vcc_lo, v[4:5], v[2:3]
	s_or_b32 s5, vcc_lo, s5
	s_waitcnt vmcnt(4)
	v_fmac_f32_e32 v17, v27, v13
	s_waitcnt vmcnt(2)
	s_delay_alu instid0(VALU_DEP_1) | instskip(SKIP_1) | instid1(VALU_DEP_1)
	v_fmac_f32_e32 v17, v14, v12
	s_waitcnt vmcnt(0)
	v_fmac_f32_e32 v17, v15, v18
	s_and_not1_b32 exec_lo, exec_lo, s5
	s_cbranch_execnz .LBB13_15
; %bb.16:
	s_or_b32 exec_lo, exec_lo, s5
.LBB13_17:
	s_delay_alu instid0(SALU_CYCLE_1)
	s_or_b32 exec_lo, exec_lo, s1
.LBB13_18:
	s_delay_alu instid0(SALU_CYCLE_1)
	s_or_b32 exec_lo, exec_lo, s4
	v_lshlrev_b32_e32 v5, 2, v0
	v_cmp_gt_u32_e32 vcc_lo, 5, v16
	ds_bpermute_b32 v2, v5, v17 offset:20
	ds_bpermute_b32 v3, v5, v17 offset:40
	;; [unrolled: 1-line block ×4, first 2 shown]
	s_and_b32 exec_lo, exec_lo, vcc_lo
	s_cbranch_execz .LBB13_20
; %bb.19:
	v_mad_u64_u32 v[6:7], null, v1, 5, v[0:1]
	s_waitcnt lgkmcnt(3)
	v_add_f32_e32 v2, v17, v2
	s_delay_alu instid0(VALU_DEP_2) | instskip(NEXT) | instid1(VALU_DEP_1)
	v_ashrrev_i32_e32 v7, 31, v6
	v_lshlrev_b64 v[0:1], 2, v[6:7]
	s_delay_alu instid0(VALU_DEP_1) | instskip(NEXT) | instid1(VALU_DEP_2)
	v_add_co_u32 v0, vcc_lo, s2, v0
	v_add_co_ci_u32_e32 v1, vcc_lo, s3, v1, vcc_lo
	global_load_b32 v6, v[0:1], off
	s_waitcnt vmcnt(0) lgkmcnt(2)
	v_dual_add_f32 v2, v2, v3 :: v_dual_mul_f32 v3, s12, v6
	s_waitcnt lgkmcnt(1)
	s_delay_alu instid0(VALU_DEP_1) | instskip(SKIP_1) | instid1(VALU_DEP_1)
	v_add_f32_e32 v2, v2, v4
	s_waitcnt lgkmcnt(0)
	v_add_f32_e32 v2, v2, v5
	s_delay_alu instid0(VALU_DEP_1)
	v_fmac_f32_e32 v3, s6, v2
	global_store_b32 v[0:1], v3, off
.LBB13_20:
	s_nop 0
	s_sendmsg sendmsg(MSG_DEALLOC_VGPRS)
	s_endpgm
	.section	.rodata,"a",@progbits
	.p2align	6, 0x0
	.amdhsa_kernel _ZN9rocsparseL19sbsrxmvn_5x5_kernelILj256EL20rocsparse_direction_0EllEEvT2_NS_24const_host_device_scalarIfEES2_PKS2_PKT1_S9_S6_PKfSB_S4_Pf21rocsparse_index_base_b
		.amdhsa_group_segment_fixed_size 0
		.amdhsa_private_segment_fixed_size 0
		.amdhsa_kernarg_size 352
		.amdhsa_user_sgpr_count 15
		.amdhsa_user_sgpr_dispatch_ptr 0
		.amdhsa_user_sgpr_queue_ptr 0
		.amdhsa_user_sgpr_kernarg_segment_ptr 1
		.amdhsa_user_sgpr_dispatch_id 0
		.amdhsa_user_sgpr_private_segment_size 0
		.amdhsa_wavefront_size32 1
		.amdhsa_uses_dynamic_stack 0
		.amdhsa_enable_private_segment 0
		.amdhsa_system_sgpr_workgroup_id_x 1
		.amdhsa_system_sgpr_workgroup_id_y 0
		.amdhsa_system_sgpr_workgroup_id_z 0
		.amdhsa_system_sgpr_workgroup_info 0
		.amdhsa_system_vgpr_workitem_id 1
		.amdhsa_next_free_vgpr 32
		.amdhsa_next_free_sgpr 18
		.amdhsa_reserve_vcc 1
		.amdhsa_float_round_mode_32 0
		.amdhsa_float_round_mode_16_64 0
		.amdhsa_float_denorm_mode_32 3
		.amdhsa_float_denorm_mode_16_64 3
		.amdhsa_dx10_clamp 1
		.amdhsa_ieee_mode 1
		.amdhsa_fp16_overflow 0
		.amdhsa_workgroup_processor_mode 1
		.amdhsa_memory_ordered 1
		.amdhsa_forward_progress 0
		.amdhsa_shared_vgpr_count 0
		.amdhsa_exception_fp_ieee_invalid_op 0
		.amdhsa_exception_fp_denorm_src 0
		.amdhsa_exception_fp_ieee_div_zero 0
		.amdhsa_exception_fp_ieee_overflow 0
		.amdhsa_exception_fp_ieee_underflow 0
		.amdhsa_exception_fp_ieee_inexact 0
		.amdhsa_exception_int_div_zero 0
	.end_amdhsa_kernel
	.section	.text._ZN9rocsparseL19sbsrxmvn_5x5_kernelILj256EL20rocsparse_direction_0EllEEvT2_NS_24const_host_device_scalarIfEES2_PKS2_PKT1_S9_S6_PKfSB_S4_Pf21rocsparse_index_base_b,"axG",@progbits,_ZN9rocsparseL19sbsrxmvn_5x5_kernelILj256EL20rocsparse_direction_0EllEEvT2_NS_24const_host_device_scalarIfEES2_PKS2_PKT1_S9_S6_PKfSB_S4_Pf21rocsparse_index_base_b,comdat
.Lfunc_end13:
	.size	_ZN9rocsparseL19sbsrxmvn_5x5_kernelILj256EL20rocsparse_direction_0EllEEvT2_NS_24const_host_device_scalarIfEES2_PKS2_PKT1_S9_S6_PKfSB_S4_Pf21rocsparse_index_base_b, .Lfunc_end13-_ZN9rocsparseL19sbsrxmvn_5x5_kernelILj256EL20rocsparse_direction_0EllEEvT2_NS_24const_host_device_scalarIfEES2_PKS2_PKT1_S9_S6_PKfSB_S4_Pf21rocsparse_index_base_b
                                        ; -- End function
	.section	.AMDGPU.csdata,"",@progbits
; Kernel info:
; codeLenInByte = 1496
; NumSgprs: 20
; NumVgprs: 32
; ScratchSize: 0
; MemoryBound: 0
; FloatMode: 240
; IeeeMode: 1
; LDSByteSize: 0 bytes/workgroup (compile time only)
; SGPRBlocks: 2
; VGPRBlocks: 3
; NumSGPRsForWavesPerEU: 20
; NumVGPRsForWavesPerEU: 32
; Occupancy: 16
; WaveLimiterHint : 1
; COMPUTE_PGM_RSRC2:SCRATCH_EN: 0
; COMPUTE_PGM_RSRC2:USER_SGPR: 15
; COMPUTE_PGM_RSRC2:TRAP_HANDLER: 0
; COMPUTE_PGM_RSRC2:TGID_X_EN: 1
; COMPUTE_PGM_RSRC2:TGID_Y_EN: 0
; COMPUTE_PGM_RSRC2:TGID_Z_EN: 0
; COMPUTE_PGM_RSRC2:TIDIG_COMP_CNT: 1
	.section	.text._ZN9rocsparseL19sbsrxmvn_5x5_kernelILj256EL20rocsparse_direction_1EllEEvT2_NS_24const_host_device_scalarIfEES2_PKS2_PKT1_S9_S6_PKfSB_S4_Pf21rocsparse_index_base_b,"axG",@progbits,_ZN9rocsparseL19sbsrxmvn_5x5_kernelILj256EL20rocsparse_direction_1EllEEvT2_NS_24const_host_device_scalarIfEES2_PKS2_PKT1_S9_S6_PKfSB_S4_Pf21rocsparse_index_base_b,comdat
	.globl	_ZN9rocsparseL19sbsrxmvn_5x5_kernelILj256EL20rocsparse_direction_1EllEEvT2_NS_24const_host_device_scalarIfEES2_PKS2_PKT1_S9_S6_PKfSB_S4_Pf21rocsparse_index_base_b ; -- Begin function _ZN9rocsparseL19sbsrxmvn_5x5_kernelILj256EL20rocsparse_direction_1EllEEvT2_NS_24const_host_device_scalarIfEES2_PKS2_PKT1_S9_S6_PKfSB_S4_Pf21rocsparse_index_base_b
	.p2align	8
	.type	_ZN9rocsparseL19sbsrxmvn_5x5_kernelILj256EL20rocsparse_direction_1EllEEvT2_NS_24const_host_device_scalarIfEES2_PKS2_PKT1_S9_S6_PKfSB_S4_Pf21rocsparse_index_base_b,@function
_ZN9rocsparseL19sbsrxmvn_5x5_kernelILj256EL20rocsparse_direction_1EllEEvT2_NS_24const_host_device_scalarIfEES2_PKS2_PKT1_S9_S6_PKfSB_S4_Pf21rocsparse_index_base_b: ; @_ZN9rocsparseL19sbsrxmvn_5x5_kernelILj256EL20rocsparse_direction_1EllEEvT2_NS_24const_host_device_scalarIfEES2_PKS2_PKT1_S9_S6_PKfSB_S4_Pf21rocsparse_index_base_b
; %bb.0:
	s_clause 0x2
	s_load_b64 s[16:17], s[0:1], 0x58
	s_load_b128 s[4:7], s[0:1], 0x0
	s_load_b64 s[12:13], s[0:1], 0x48
	s_waitcnt lgkmcnt(0)
	s_bitcmp1_b32 s17, 0
	s_cselect_b32 s2, -1, 0
	s_delay_alu instid0(SALU_CYCLE_1)
	s_and_b32 vcc_lo, exec_lo, s2
	s_xor_b32 s2, s2, -1
	s_cbranch_vccnz .LBB14_2
; %bb.1:
	s_load_b32 s6, s[6:7], 0x0
.LBB14_2:
	s_and_not1_b32 vcc_lo, exec_lo, s2
	s_cbranch_vccnz .LBB14_4
; %bb.3:
	s_load_b32 s12, s[12:13], 0x0
.LBB14_4:
	s_waitcnt lgkmcnt(0)
	v_cmp_neq_f32_e64 s2, s6, 0
	v_cmp_neq_f32_e64 s3, s12, 1.0
	s_delay_alu instid0(VALU_DEP_1) | instskip(NEXT) | instid1(SALU_CYCLE_1)
	s_or_b32 s2, s2, s3
	s_and_not1_b32 vcc_lo, exec_lo, s2
	s_cbranch_vccnz .LBB14_20
; %bb.5:
	s_clause 0x1
	s_load_b32 s7, s[0:1], 0x6c
	s_load_b64 s[2:3], s[0:1], 0x18
	v_bfe_u32 v3, v0, 10, 10
	s_waitcnt lgkmcnt(0)
	s_lshr_b32 s7, s7, 16
	s_cmp_eq_u64 s[2:3], 0
	s_delay_alu instid0(VALU_DEP_1)
	v_mad_u64_u32 v[1:2], null, s15, s7, v[3:4]
	s_cbranch_scc1 .LBB14_7
; %bb.6:
	s_delay_alu instid0(VALU_DEP_1) | instskip(NEXT) | instid1(VALU_DEP_1)
	v_ashrrev_i32_e32 v2, 31, v1
	v_lshlrev_b64 v[1:2], 3, v[1:2]
	s_delay_alu instid0(VALU_DEP_1) | instskip(NEXT) | instid1(VALU_DEP_2)
	v_add_co_u32 v1, vcc_lo, s2, v1
	v_add_co_ci_u32_e32 v2, vcc_lo, s3, v2, vcc_lo
	global_load_b32 v1, v[1:2], off
	s_waitcnt vmcnt(0)
	v_subrev_nc_u32_e32 v1, s16, v1
.LBB14_7:
	s_delay_alu instid0(VALU_DEP_1) | instskip(SKIP_1) | instid1(VALU_DEP_2)
	v_ashrrev_i32_e32 v2, 31, v1
	v_and_b32_e32 v16, 0x3ff, v0
	v_cmp_gt_i64_e32 vcc_lo, s[4:5], v[1:2]
	s_delay_alu instid0(VALU_DEP_2) | instskip(NEXT) | instid1(VALU_DEP_1)
	v_cmp_gt_u32_e64 s2, 25, v16
	s_and_b32 s2, s2, vcc_lo
	s_delay_alu instid0(SALU_CYCLE_1)
	s_and_saveexec_b32 s3, s2
	s_cbranch_execz .LBB14_20
; %bb.8:
	s_clause 0x1
	s_load_b128 s[8:11], s[0:1], 0x20
	s_load_b64 s[2:3], s[0:1], 0x50
	v_lshlrev_b64 v[2:3], 3, v[1:2]
	v_mov_b32_e32 v17, 0
	s_mov_b32 s4, exec_lo
	s_waitcnt lgkmcnt(0)
	s_delay_alu instid0(VALU_DEP_2) | instskip(NEXT) | instid1(VALU_DEP_3)
	v_add_co_u32 v4, vcc_lo, s8, v2
	v_add_co_ci_u32_e32 v5, vcc_lo, s9, v3, vcc_lo
	v_add_co_u32 v0, vcc_lo, s10, v2
	v_add_co_ci_u32_e32 v2, vcc_lo, s11, v3, vcc_lo
	s_delay_alu instid0(VALU_DEP_4) | instskip(NEXT) | instid1(VALU_DEP_4)
	v_add_co_u32 v6, vcc_lo, v4, 8
	v_add_co_ci_u32_e32 v3, vcc_lo, 0, v5, vcc_lo
	s_cmp_eq_u64 s[10:11], 0
	s_cselect_b32 vcc_lo, -1, 0
	s_delay_alu instid0(VALU_DEP_1) | instskip(SKIP_3) | instid1(VALU_DEP_1)
	v_dual_cndmask_b32 v3, v2, v3 :: v_dual_cndmask_b32 v2, v0, v6
	global_load_b64 v[10:11], v[4:5], off
	global_load_b64 v[2:3], v[2:3], off
	v_mul_u32_u24_e32 v0, 0x3334, v16
	v_lshrrev_b32_e32 v0, 16, v0
	s_waitcnt vmcnt(0)
	v_cmpx_lt_i64_e64 v[10:11], v[2:3]
	s_cbranch_execz .LBB14_18
; %bb.9:
	v_sub_co_u32 v2, vcc_lo, v2, s16
	s_load_b128 s[8:11], s[0:1], 0x30
	v_subrev_co_ci_u32_e32 v3, vcc_lo, 0, v3, vcc_lo
	v_sub_co_u32 v4, vcc_lo, v10, s16
	v_subrev_co_ci_u32_e32 v5, vcc_lo, 0, v11, vcc_lo
	s_load_b64 s[0:1], s[0:1], 0x40
	s_delay_alu instid0(VALU_DEP_2) | instskip(NEXT) | instid1(VALU_DEP_2)
	v_add_co_u32 v8, vcc_lo, v4, 1
	v_add_co_ci_u32_e32 v9, vcc_lo, 0, v5, vcc_lo
	s_mov_b32 s17, 0
	v_mov_b32_e32 v17, 0
	s_delay_alu instid0(VALU_DEP_2) | instskip(SKIP_2) | instid1(VALU_DEP_1)
	v_cmp_gt_i64_e32 vcc_lo, v[8:9], v[2:3]
	v_dual_cndmask_b32 v9, v3, v9 :: v_dual_lshlrev_b32 v6, 2, v16
	s_waitcnt lgkmcnt(0)
	v_add_co_u32 v12, s5, s10, v6
	v_cndmask_b32_e32 v8, v2, v8, vcc_lo
	v_add_co_ci_u32_e64 v13, null, s11, 0, s5
	s_delay_alu instid0(VALU_DEP_2) | instskip(SKIP_1) | instid1(VALU_DEP_3)
	v_add_co_u32 v18, vcc_lo, v8, s16
	v_and_b32_e32 v8, 0xffff, v0
	v_mad_u64_u32 v[6:7], null, 0x64, v4, v[12:13]
	v_add_co_ci_u32_e32 v19, vcc_lo, 0, v9, vcc_lo
	s_delay_alu instid0(VALU_DEP_3) | instskip(SKIP_1) | instid1(VALU_DEP_2)
	v_lshlrev_b32_e32 v8, 2, v8
	v_sub_nc_u32_e32 v9, v18, v10
	v_mad_u64_u32 v[13:14], null, 0x64, v5, v[7:8]
	v_add_co_u32 v8, s0, s0, v8
	s_delay_alu instid0(VALU_DEP_3) | instskip(SKIP_2) | instid1(VALU_DEP_4)
	v_and_b32_e32 v12, 3, v9
	v_add_co_ci_u32_e64 v9, null, s1, 0, s0
	s_mov_b32 s1, exec_lo
	v_mov_b32_e32 v7, v13
	s_delay_alu instid0(VALU_DEP_3)
	v_cmpx_ne_u32_e32 0, v12
	s_cbranch_execz .LBB14_13
; %bb.10:
	v_lshlrev_b64 v[14:15], 3, v[10:11]
	s_lshl_b64 s[10:11], s[16:17], 3
	v_mul_hi_u32_u24_e32 v13, 0x64, v12
	v_mul_u32_u24_e32 v12, 0x64, v12
	v_mov_b32_e32 v17, 0
	s_delay_alu instid0(VALU_DEP_4) | instskip(SKIP_1) | instid1(VALU_DEP_2)
	v_sub_co_u32 v14, vcc_lo, v14, s10
	v_subrev_co_ci_u32_e32 v15, vcc_lo, s11, v15, vcc_lo
	v_add_co_u32 v14, vcc_lo, s8, v14
	s_delay_alu instid0(VALU_DEP_2)
	v_add_co_ci_u32_e32 v15, vcc_lo, s9, v15, vcc_lo
	s_set_inst_prefetch_distance 0x1
	.p2align	6
.LBB14_11:                              ; =>This Inner Loop Header: Depth=1
	global_load_b64 v[20:21], v[14:15], off
	v_add_co_u32 v14, s0, v14, 8
	s_delay_alu instid0(VALU_DEP_1) | instskip(SKIP_3) | instid1(VALU_DEP_2)
	v_add_co_ci_u32_e64 v15, s0, 0, v15, s0
	s_waitcnt vmcnt(0)
	v_sub_co_u32 v22, vcc_lo, v20, s16
	v_subrev_co_ci_u32_e32 v24, vcc_lo, 0, v21, vcc_lo
	v_mad_u64_u32 v[20:21], null, v22, 20, v[8:9]
	s_delay_alu instid0(VALU_DEP_1) | instskip(NEXT) | instid1(VALU_DEP_1)
	v_mad_u64_u32 v[22:23], null, v24, 20, v[21:22]
	v_mov_b32_e32 v21, v22
	global_load_b32 v22, v[6:7], off
	global_load_b32 v20, v[20:21], off
	v_add_co_u32 v6, vcc_lo, 0x64, v6
	v_add_co_ci_u32_e32 v7, vcc_lo, 0, v7, vcc_lo
	v_add_co_u32 v12, vcc_lo, 0xffffff9c, v12
	v_add_co_ci_u32_e32 v13, vcc_lo, -1, v13, vcc_lo
	v_add_co_u32 v4, vcc_lo, v4, 1
	v_add_co_ci_u32_e32 v5, vcc_lo, 0, v5, vcc_lo
	s_delay_alu instid0(VALU_DEP_3)
	v_cmp_eq_u64_e32 vcc_lo, 0, v[12:13]
	s_or_b32 s17, vcc_lo, s17
	s_waitcnt vmcnt(0)
	v_fmac_f32_e32 v17, v22, v20
	s_and_not1_b32 exec_lo, exec_lo, s17
	s_cbranch_execnz .LBB14_11
; %bb.12:
	s_set_inst_prefetch_distance 0x2
	s_or_b32 exec_lo, exec_lo, s17
.LBB14_13:
	s_delay_alu instid0(SALU_CYCLE_1) | instskip(SKIP_3) | instid1(VALU_DEP_1)
	s_or_b32 exec_lo, exec_lo, s1
	v_sub_co_u32 v10, vcc_lo, v10, v18
	v_sub_co_ci_u32_e32 v11, vcc_lo, v11, v19, vcc_lo
	s_mov_b32 s1, exec_lo
	v_cmpx_gt_u64_e32 -3, v[10:11]
	s_cbranch_execz .LBB14_17
; %bb.14:
	v_lshlrev_b64 v[10:11], 3, v[4:5]
	s_mov_b32 s5, 0
	s_delay_alu instid0(VALU_DEP_1) | instskip(NEXT) | instid1(VALU_DEP_2)
	v_add_co_u32 v10, vcc_lo, v10, s8
	v_add_co_ci_u32_e32 v11, vcc_lo, s9, v11, vcc_lo
	s_delay_alu instid0(VALU_DEP_2) | instskip(NEXT) | instid1(VALU_DEP_2)
	v_add_co_u32 v10, vcc_lo, v10, 16
	v_add_co_ci_u32_e32 v11, vcc_lo, 0, v11, vcc_lo
.LBB14_15:                              ; =>This Inner Loop Header: Depth=1
	s_clause 0x1
	global_load_b128 v[12:15], v[10:11], off offset:-16
	global_load_b128 v[18:21], v[10:11], off
	s_clause 0x1
	global_load_b32 v26, v[6:7], off
	global_load_b32 v27, v[6:7], off offset:100
	v_add_co_u32 v10, s0, v10, 32
	s_delay_alu instid0(VALU_DEP_1)
	v_add_co_ci_u32_e64 v11, s0, 0, v11, s0
	s_waitcnt vmcnt(3)
	v_sub_co_u32 v22, vcc_lo, v12, s16
	v_subrev_co_ci_u32_e32 v24, vcc_lo, 0, v13, vcc_lo
	v_sub_co_u32 v23, vcc_lo, v14, s16
	v_subrev_co_ci_u32_e32 v25, vcc_lo, 0, v15, vcc_lo
	s_delay_alu instid0(VALU_DEP_4) | instskip(NEXT) | instid1(VALU_DEP_3)
	v_mad_u64_u32 v[12:13], null, v22, 20, v[8:9]
	v_mad_u64_u32 v[14:15], null, v23, 20, v[8:9]
	s_waitcnt vmcnt(2)
	v_sub_co_u32 v28, vcc_lo, v18, s16
	v_subrev_co_ci_u32_e32 v29, vcc_lo, 0, v19, vcc_lo
	v_sub_co_u32 v30, vcc_lo, v20, s16
	s_delay_alu instid0(VALU_DEP_4) | instskip(SKIP_2) | instid1(VALU_DEP_4)
	v_mad_u64_u32 v[22:23], null, v24, 20, v[13:14]
	v_subrev_co_ci_u32_e32 v31, vcc_lo, 0, v21, vcc_lo
	v_mad_u64_u32 v[18:19], null, v28, 20, v[8:9]
	v_mad_u64_u32 v[20:21], null, v30, 20, v[8:9]
	s_delay_alu instid0(VALU_DEP_4)
	v_mov_b32_e32 v13, v22
	v_mad_u64_u32 v[23:24], null, v25, 20, v[15:16]
	v_add_co_u32 v4, vcc_lo, v4, 4
	global_load_b32 v22, v[12:13], off
	v_mad_u64_u32 v[24:25], null, v29, 20, v[19:20]
	v_add_co_ci_u32_e32 v5, vcc_lo, 0, v5, vcc_lo
	v_mov_b32_e32 v15, v23
	s_delay_alu instid0(VALU_DEP_3)
	v_mov_b32_e32 v19, v24
	s_waitcnt vmcnt(0)
	v_mad_u64_u32 v[12:13], null, v31, 20, v[21:22]
	global_load_b32 v13, v[14:15], off
	global_load_b32 v14, v[6:7], off offset:200
	v_fmac_f32_e32 v17, v26, v22
	v_mov_b32_e32 v21, v12
	global_load_b32 v12, v[18:19], off
	global_load_b32 v15, v[6:7], off offset:300
	global_load_b32 v18, v[20:21], off
	v_add_co_u32 v6, vcc_lo, 0x190, v6
	v_add_co_ci_u32_e32 v7, vcc_lo, 0, v7, vcc_lo
	v_cmp_ge_i64_e32 vcc_lo, v[4:5], v[2:3]
	s_or_b32 s5, vcc_lo, s5
	s_waitcnt vmcnt(4)
	v_fmac_f32_e32 v17, v27, v13
	s_waitcnt vmcnt(2)
	s_delay_alu instid0(VALU_DEP_1) | instskip(SKIP_1) | instid1(VALU_DEP_1)
	v_fmac_f32_e32 v17, v14, v12
	s_waitcnt vmcnt(0)
	v_fmac_f32_e32 v17, v15, v18
	s_and_not1_b32 exec_lo, exec_lo, s5
	s_cbranch_execnz .LBB14_15
; %bb.16:
	s_or_b32 exec_lo, exec_lo, s5
.LBB14_17:
	s_delay_alu instid0(SALU_CYCLE_1)
	s_or_b32 exec_lo, exec_lo, s1
.LBB14_18:
	s_delay_alu instid0(SALU_CYCLE_1) | instskip(SKIP_2) | instid1(VALU_DEP_2)
	s_or_b32 exec_lo, exec_lo, s4
	v_mul_lo_u16 v0, v0, 5
	v_cmp_gt_u32_e32 vcc_lo, 5, v16
	v_sub_nc_u16 v0, v16, v0
	s_delay_alu instid0(VALU_DEP_1) | instskip(NEXT) | instid1(VALU_DEP_1)
	v_and_b32_e32 v0, 0xffff, v0
	v_lshlrev_b32_e32 v5, 2, v0
	ds_bpermute_b32 v2, v5, v17 offset:20
	ds_bpermute_b32 v3, v5, v17 offset:40
	;; [unrolled: 1-line block ×4, first 2 shown]
	s_and_b32 exec_lo, exec_lo, vcc_lo
	s_cbranch_execz .LBB14_20
; %bb.19:
	v_mad_u64_u32 v[6:7], null, v1, 5, v[0:1]
	s_waitcnt lgkmcnt(3)
	v_add_f32_e32 v2, v17, v2
	s_delay_alu instid0(VALU_DEP_2) | instskip(NEXT) | instid1(VALU_DEP_1)
	v_ashrrev_i32_e32 v7, 31, v6
	v_lshlrev_b64 v[0:1], 2, v[6:7]
	s_delay_alu instid0(VALU_DEP_1) | instskip(NEXT) | instid1(VALU_DEP_2)
	v_add_co_u32 v0, vcc_lo, s2, v0
	v_add_co_ci_u32_e32 v1, vcc_lo, s3, v1, vcc_lo
	global_load_b32 v6, v[0:1], off
	s_waitcnt vmcnt(0) lgkmcnt(2)
	v_dual_add_f32 v2, v2, v3 :: v_dual_mul_f32 v3, s12, v6
	s_waitcnt lgkmcnt(1)
	s_delay_alu instid0(VALU_DEP_1) | instskip(SKIP_1) | instid1(VALU_DEP_1)
	v_add_f32_e32 v2, v2, v4
	s_waitcnt lgkmcnt(0)
	v_add_f32_e32 v2, v2, v5
	s_delay_alu instid0(VALU_DEP_1)
	v_fmac_f32_e32 v3, s6, v2
	global_store_b32 v[0:1], v3, off
.LBB14_20:
	s_nop 0
	s_sendmsg sendmsg(MSG_DEALLOC_VGPRS)
	s_endpgm
	.section	.rodata,"a",@progbits
	.p2align	6, 0x0
	.amdhsa_kernel _ZN9rocsparseL19sbsrxmvn_5x5_kernelILj256EL20rocsparse_direction_1EllEEvT2_NS_24const_host_device_scalarIfEES2_PKS2_PKT1_S9_S6_PKfSB_S4_Pf21rocsparse_index_base_b
		.amdhsa_group_segment_fixed_size 0
		.amdhsa_private_segment_fixed_size 0
		.amdhsa_kernarg_size 352
		.amdhsa_user_sgpr_count 15
		.amdhsa_user_sgpr_dispatch_ptr 0
		.amdhsa_user_sgpr_queue_ptr 0
		.amdhsa_user_sgpr_kernarg_segment_ptr 1
		.amdhsa_user_sgpr_dispatch_id 0
		.amdhsa_user_sgpr_private_segment_size 0
		.amdhsa_wavefront_size32 1
		.amdhsa_uses_dynamic_stack 0
		.amdhsa_enable_private_segment 0
		.amdhsa_system_sgpr_workgroup_id_x 1
		.amdhsa_system_sgpr_workgroup_id_y 0
		.amdhsa_system_sgpr_workgroup_id_z 0
		.amdhsa_system_sgpr_workgroup_info 0
		.amdhsa_system_vgpr_workitem_id 1
		.amdhsa_next_free_vgpr 32
		.amdhsa_next_free_sgpr 18
		.amdhsa_reserve_vcc 1
		.amdhsa_float_round_mode_32 0
		.amdhsa_float_round_mode_16_64 0
		.amdhsa_float_denorm_mode_32 3
		.amdhsa_float_denorm_mode_16_64 3
		.amdhsa_dx10_clamp 1
		.amdhsa_ieee_mode 1
		.amdhsa_fp16_overflow 0
		.amdhsa_workgroup_processor_mode 1
		.amdhsa_memory_ordered 1
		.amdhsa_forward_progress 0
		.amdhsa_shared_vgpr_count 0
		.amdhsa_exception_fp_ieee_invalid_op 0
		.amdhsa_exception_fp_denorm_src 0
		.amdhsa_exception_fp_ieee_div_zero 0
		.amdhsa_exception_fp_ieee_overflow 0
		.amdhsa_exception_fp_ieee_underflow 0
		.amdhsa_exception_fp_ieee_inexact 0
		.amdhsa_exception_int_div_zero 0
	.end_amdhsa_kernel
	.section	.text._ZN9rocsparseL19sbsrxmvn_5x5_kernelILj256EL20rocsparse_direction_1EllEEvT2_NS_24const_host_device_scalarIfEES2_PKS2_PKT1_S9_S6_PKfSB_S4_Pf21rocsparse_index_base_b,"axG",@progbits,_ZN9rocsparseL19sbsrxmvn_5x5_kernelILj256EL20rocsparse_direction_1EllEEvT2_NS_24const_host_device_scalarIfEES2_PKS2_PKT1_S9_S6_PKfSB_S4_Pf21rocsparse_index_base_b,comdat
.Lfunc_end14:
	.size	_ZN9rocsparseL19sbsrxmvn_5x5_kernelILj256EL20rocsparse_direction_1EllEEvT2_NS_24const_host_device_scalarIfEES2_PKS2_PKT1_S9_S6_PKfSB_S4_Pf21rocsparse_index_base_b, .Lfunc_end14-_ZN9rocsparseL19sbsrxmvn_5x5_kernelILj256EL20rocsparse_direction_1EllEEvT2_NS_24const_host_device_scalarIfEES2_PKS2_PKT1_S9_S6_PKfSB_S4_Pf21rocsparse_index_base_b
                                        ; -- End function
	.section	.AMDGPU.csdata,"",@progbits
; Kernel info:
; codeLenInByte = 1484
; NumSgprs: 20
; NumVgprs: 32
; ScratchSize: 0
; MemoryBound: 0
; FloatMode: 240
; IeeeMode: 1
; LDSByteSize: 0 bytes/workgroup (compile time only)
; SGPRBlocks: 2
; VGPRBlocks: 3
; NumSGPRsForWavesPerEU: 20
; NumVGPRsForWavesPerEU: 32
; Occupancy: 16
; WaveLimiterHint : 1
; COMPUTE_PGM_RSRC2:SCRATCH_EN: 0
; COMPUTE_PGM_RSRC2:USER_SGPR: 15
; COMPUTE_PGM_RSRC2:TRAP_HANDLER: 0
; COMPUTE_PGM_RSRC2:TGID_X_EN: 1
; COMPUTE_PGM_RSRC2:TGID_Y_EN: 0
; COMPUTE_PGM_RSRC2:TGID_Z_EN: 0
; COMPUTE_PGM_RSRC2:TIDIG_COMP_CNT: 1
	.section	.text._ZN9rocsparseL18bsrxmvn_5x5_kernelILj50EdlldddEEvT2_20rocsparse_direction_NS_24const_host_device_scalarIT0_EES1_PKS1_PKT1_SA_S7_PKT3_PKT4_S5_PT5_21rocsparse_index_base_b,"axG",@progbits,_ZN9rocsparseL18bsrxmvn_5x5_kernelILj50EdlldddEEvT2_20rocsparse_direction_NS_24const_host_device_scalarIT0_EES1_PKS1_PKT1_SA_S7_PKT3_PKT4_S5_PT5_21rocsparse_index_base_b,comdat
	.globl	_ZN9rocsparseL18bsrxmvn_5x5_kernelILj50EdlldddEEvT2_20rocsparse_direction_NS_24const_host_device_scalarIT0_EES1_PKS1_PKT1_SA_S7_PKT3_PKT4_S5_PT5_21rocsparse_index_base_b ; -- Begin function _ZN9rocsparseL18bsrxmvn_5x5_kernelILj50EdlldddEEvT2_20rocsparse_direction_NS_24const_host_device_scalarIT0_EES1_PKS1_PKT1_SA_S7_PKT3_PKT4_S5_PT5_21rocsparse_index_base_b
	.p2align	8
	.type	_ZN9rocsparseL18bsrxmvn_5x5_kernelILj50EdlldddEEvT2_20rocsparse_direction_NS_24const_host_device_scalarIT0_EES1_PKS1_PKT1_SA_S7_PKT3_PKT4_S5_PT5_21rocsparse_index_base_b,@function
_ZN9rocsparseL18bsrxmvn_5x5_kernelILj50EdlldddEEvT2_20rocsparse_direction_NS_24const_host_device_scalarIT0_EES1_PKS1_PKT1_SA_S7_PKT3_PKT4_S5_PT5_21rocsparse_index_base_b: ; @_ZN9rocsparseL18bsrxmvn_5x5_kernelILj50EdlldddEEvT2_20rocsparse_direction_NS_24const_host_device_scalarIT0_EES1_PKS1_PKT1_SA_S7_PKT3_PKT4_S5_PT5_21rocsparse_index_base_b
; %bb.0:
	s_clause 0x2
	s_load_b64 s[10:11], s[0:1], 0x60
	s_load_b64 s[4:5], s[0:1], 0x10
	;; [unrolled: 1-line block ×3, first 2 shown]
	s_mov_b32 s8, s15
	s_waitcnt lgkmcnt(0)
	s_bitcmp1_b32 s11, 0
	v_dual_mov_b32 v4, s4 :: v_dual_mov_b32 v5, s5
	s_cselect_b32 s6, -1, 0
	s_delay_alu instid0(SALU_CYCLE_1)
	s_and_b32 vcc_lo, exec_lo, s6
	s_xor_b32 s6, s6, -1
	s_cbranch_vccnz .LBB15_2
; %bb.1:
	v_dual_mov_b32 v1, s4 :: v_dual_mov_b32 v2, s5
	flat_load_b64 v[4:5], v[1:2]
.LBB15_2:
	v_dual_mov_b32 v2, s2 :: v_dual_mov_b32 v3, s3
	s_and_not1_b32 vcc_lo, exec_lo, s6
	s_cbranch_vccnz .LBB15_4
; %bb.3:
	v_dual_mov_b32 v1, s2 :: v_dual_mov_b32 v2, s3
	flat_load_b64 v[2:3], v[1:2]
.LBB15_4:
	s_waitcnt vmcnt(0) lgkmcnt(0)
	v_cmp_neq_f64_e32 vcc_lo, 0, v[4:5]
	v_cmp_neq_f64_e64 s2, 1.0, v[2:3]
	s_delay_alu instid0(VALU_DEP_1) | instskip(NEXT) | instid1(SALU_CYCLE_1)
	s_or_b32 s2, vcc_lo, s2
	s_and_saveexec_b32 s3, s2
	s_cbranch_execz .LBB15_37
; %bb.5:
	s_clause 0x1
	s_load_b128 s[4:7], s[0:1], 0x20
	s_load_b64 s[12:13], s[0:1], 0x30
	s_mov_b32 s9, 0
	s_waitcnt lgkmcnt(0)
	s_cmp_eq_u64 s[4:5], 0
	s_cbranch_scc1 .LBB15_7
; %bb.6:
	s_lshl_b64 s[2:3], s[8:9], 3
	s_delay_alu instid0(SALU_CYCLE_1)
	s_add_u32 s2, s4, s2
	s_addc_u32 s3, s5, s3
	s_load_b64 s[2:3], s[2:3], 0x0
	s_waitcnt lgkmcnt(0)
	s_sub_u32 s8, s2, s10
	s_subb_u32 s9, s3, 0
.LBB15_7:
	s_load_b32 s3, s[0:1], 0x8
	v_mul_u32_u24_e32 v1, 0x3334, v0
	s_delay_alu instid0(VALU_DEP_1) | instskip(NEXT) | instid1(VALU_DEP_1)
	v_lshrrev_b32_e32 v8, 16, v1
	v_mul_lo_u16 v6, v8, 5
	s_waitcnt lgkmcnt(0)
	s_cmp_eq_u32 s3, 1
	s_cselect_b32 s2, -1, 0
	s_cmp_lg_u32 s3, 1
	s_cselect_b32 s11, -1, 0
	s_lshl_b64 s[4:5], s[8:9], 3
	s_delay_alu instid0(SALU_CYCLE_1)
	s_add_u32 s6, s6, s4
	s_addc_u32 s7, s7, s5
	s_add_u32 s3, s6, 8
	s_addc_u32 s14, s7, 0
	;; [unrolled: 2-line block ×3, first 2 shown]
	s_cmp_eq_u64 s[12:13], 0
	s_cselect_b32 s5, s14, s5
	s_cselect_b32 s4, s3, s4
	s_load_b64 s[6:7], s[6:7], 0x0
	s_load_b64 s[12:13], s[4:5], 0x0
	s_mov_b64 s[14:15], 0
	s_waitcnt lgkmcnt(0)
	v_cmp_lt_i64_e64 s3, s[6:7], s[12:13]
	s_delay_alu instid0(VALU_DEP_1)
	s_and_b32 vcc_lo, exec_lo, s3
	s_cbranch_vccnz .LBB15_9
; %bb.8:
	v_mov_b32_e32 v1, 0
	s_mov_b32 s3, 0
	s_branch .LBB15_10
.LBB15_9:
	s_mov_b32 s3, -1
                                        ; implicit-def: $sgpr14_sgpr15
.LBB15_10:
	s_load_b64 s[4:5], s[0:1], 0x58
	v_sub_nc_u16 v15, v0, v6
	v_dual_mov_b32 v6, s14 :: v_dual_mov_b32 v7, s15
	v_lshlrev_b32_e32 v14, 3, v0
	s_and_not1_b32 vcc_lo, exec_lo, s3
	s_cbranch_vccnz .LBB15_15
; %bb.11:
	v_mul_lo_u16 v6, v8, 52
	v_mov_b32_e32 v1, 0
	s_clause 0x1
	s_load_b64 s[14:15], s[0:1], 0x48
	s_load_b128 s[16:19], s[0:1], 0x38
	s_mul_hi_u32 s1, s10, 0xc8
	v_lshrrev_b16 v9, 8, v6
	v_dual_mov_b32 v7, v1 :: v_dual_lshlrev_b32 v6, 3, v0
	v_and_b32_e32 v12, 0xffff, v0
	s_sub_u32 s0, s12, s10
	s_delay_alu instid0(VALU_DEP_3) | instskip(NEXT) | instid1(VALU_DEP_3)
	v_mul_lo_u16 v9, v9, 5
	v_mad_u64_u32 v[10:11], null, 0xc8, s6, v[6:7]
	v_and_b32_e32 v7, 0xffff, v15
	s_delay_alu instid0(VALU_DEP_3) | instskip(SKIP_1) | instid1(VALU_DEP_2)
	v_sub_nc_u16 v6, v8, v9
	v_mul_u32_u24_e32 v8, 0xa3e, v12
	v_dual_mov_b32 v6, v11 :: v_dual_and_b32 v9, 0xff, v6
	s_delay_alu instid0(VALU_DEP_2) | instskip(NEXT) | instid1(VALU_DEP_2)
	v_lshrrev_b32_e32 v16, 16, v8
	v_cndmask_b32_e64 v9, v7, v9, s2
	s_delay_alu instid0(VALU_DEP_3) | instskip(NEXT) | instid1(VALU_DEP_3)
	v_mad_u64_u32 v[7:8], null, 0xc8, s7, v[6:7]
	v_add_co_u32 v11, s3, s6, v16
	s_delay_alu instid0(VALU_DEP_3) | instskip(SKIP_2) | instid1(VALU_DEP_4)
	v_lshlrev_b32_e32 v6, 3, v9
	v_add_co_ci_u32_e64 v12, null, s7, 0, s3
	s_mul_i32 s2, s10, 0xc8
	v_mov_b32_e32 v13, v7
	s_waitcnt lgkmcnt(0)
	v_add_co_u32 v8, s3, s14, v6
	v_sub_co_u32 v6, vcc_lo, v11, s10
	v_subrev_co_ci_u32_e32 v7, vcc_lo, 0, v12, vcc_lo
	v_sub_co_u32 v10, vcc_lo, v10, s2
	v_subrev_co_ci_u32_e32 v11, vcc_lo, s1, v13, vcc_lo
	s_delay_alu instid0(VALU_DEP_3) | instskip(NEXT) | instid1(VALU_DEP_3)
	v_lshlrev_b64 v[12:13], 3, v[6:7]
	v_add_co_u32 v10, vcc_lo, s18, v10
	s_delay_alu instid0(VALU_DEP_3) | instskip(SKIP_1) | instid1(VALU_DEP_4)
	v_add_co_ci_u32_e32 v11, vcc_lo, s19, v11, vcc_lo
	v_mov_b32_e32 v6, 0
	v_add_co_u32 v12, vcc_lo, s16, v12
	v_add_co_ci_u32_e64 v9, null, s15, 0, s3
	v_mov_b32_e32 v7, 0
	v_add_co_ci_u32_e32 v13, vcc_lo, s17, v13, vcc_lo
	s_subb_u32 s1, s13, 0
	s_sub_u32 s2, s6, s10
	s_subb_u32 s3, s7, 0
	s_set_inst_prefetch_distance 0x1
	s_branch .LBB15_13
	.p2align	6
.LBB15_12:                              ;   in Loop: Header=BB15_13 Depth=1
	s_or_b32 exec_lo, exec_lo, s6
	s_add_u32 s2, s2, 2
	s_addc_u32 s3, s3, 0
	v_add_co_u32 v10, vcc_lo, 0x190, v10
	v_cmp_ge_i64_e64 s6, s[2:3], s[0:1]
	v_add_co_ci_u32_e32 v11, vcc_lo, 0, v11, vcc_lo
	v_add_co_u32 v12, vcc_lo, v12, 16
	v_add_co_ci_u32_e32 v13, vcc_lo, 0, v13, vcc_lo
	s_delay_alu instid0(VALU_DEP_4)
	s_and_b32 vcc_lo, exec_lo, s6
	s_cbranch_vccnz .LBB15_15
.LBB15_13:                              ; =>This Inner Loop Header: Depth=1
	v_add_co_u32 v17, s6, v16, s2
	s_delay_alu instid0(VALU_DEP_1) | instskip(SKIP_1) | instid1(VALU_DEP_1)
	v_add_co_ci_u32_e64 v18, null, 0, s3, s6
	s_mov_b32 s6, exec_lo
	v_cmpx_gt_i64_e64 s[0:1], v[17:18]
	s_cbranch_execz .LBB15_12
; %bb.14:                               ;   in Loop: Header=BB15_13 Depth=1
	global_load_b64 v[17:18], v[12:13], off
	s_waitcnt vmcnt(0)
	v_sub_co_u32 v19, vcc_lo, v17, s10
	v_subrev_co_ci_u32_e32 v21, vcc_lo, 0, v18, vcc_lo
	s_delay_alu instid0(VALU_DEP_2) | instskip(NEXT) | instid1(VALU_DEP_1)
	v_mad_u64_u32 v[17:18], null, v19, 40, v[8:9]
	v_mad_u64_u32 v[19:20], null, v21, 40, v[18:19]
	s_delay_alu instid0(VALU_DEP_1)
	v_mov_b32_e32 v18, v19
	global_load_b64 v[19:20], v[10:11], off
	global_load_b64 v[17:18], v[17:18], off
	s_waitcnt vmcnt(0)
	v_fma_f64 v[6:7], v[19:20], v[17:18], v[6:7]
	s_branch .LBB15_12
.LBB15_15:
	s_set_inst_prefetch_distance 0x2
	s_and_b32 vcc_lo, exec_lo, s11
	ds_store_b64 v14, v[6:7]
	s_waitcnt lgkmcnt(0)
	buffer_gl0_inv
	s_cbranch_vccz .LBB15_25
; %bb.16:
	s_mov_b32 s0, exec_lo
	v_cmpx_gt_u32_e32 25, v0
	s_cbranch_execz .LBB15_18
; %bb.17:
	ds_load_2addr_b64 v[8:11], v14 offset1:25
	s_waitcnt lgkmcnt(0)
	v_add_f64 v[8:9], v[10:11], v[8:9]
	ds_store_b64 v14, v[8:9]
.LBB15_18:
	s_or_b32 exec_lo, exec_lo, s0
	s_delay_alu instid0(SALU_CYCLE_1)
	s_mov_b32 s0, exec_lo
	s_waitcnt lgkmcnt(0)
	buffer_gl0_inv
	v_cmpx_eq_u16_e32 0, v15
	s_cbranch_execz .LBB15_20
; %bb.19:
	ds_load_2addr_b64 v[8:11], v14 offset1:4
	s_waitcnt lgkmcnt(0)
	v_add_f64 v[8:9], v[10:11], v[8:9]
	ds_store_b64 v14, v[8:9]
.LBB15_20:
	s_or_b32 exec_lo, exec_lo, s0
	s_delay_alu instid0(SALU_CYCLE_1)
	s_mov_b32 s0, exec_lo
	s_waitcnt lgkmcnt(0)
	buffer_gl0_inv
	v_cmpx_gt_u16_e32 2, v15
	s_cbranch_execz .LBB15_22
; %bb.21:
	ds_load_2addr_b64 v[8:11], v14 offset1:2
	s_waitcnt lgkmcnt(0)
	v_add_f64 v[8:9], v[10:11], v[8:9]
	ds_store_b64 v14, v[8:9]
.LBB15_22:
	s_or_b32 exec_lo, exec_lo, s0
	s_mov_b32 s0, 0
	s_mov_b32 s1, 0
	s_mov_b32 s2, exec_lo
	s_waitcnt lgkmcnt(0)
	buffer_gl0_inv
                                        ; implicit-def: $vgpr8
                                        ; implicit-def: $vgpr9
	v_cmpx_gt_u32_e32 5, v0
	s_xor_b32 s2, exec_lo, s2
; %bb.23:
	v_mad_u32_u24 v8, v0, 5, 1
	v_lshl_add_u32 v9, v0, 5, v14
	s_mov_b32 s1, exec_lo
; %bb.24:
	s_or_b32 exec_lo, exec_lo, s2
	s_delay_alu instid0(SALU_CYCLE_1)
	s_and_b32 vcc_lo, exec_lo, s0
	s_cbranch_vccnz .LBB15_26
	s_branch .LBB15_35
.LBB15_25:
	s_mov_b32 s1, 0
                                        ; implicit-def: $vgpr8
                                        ; implicit-def: $vgpr9
	s_cbranch_execz .LBB15_35
.LBB15_26:
	v_cmp_gt_u32_e32 vcc_lo, 10, v0
	s_and_saveexec_b32 s0, vcc_lo
	s_cbranch_execz .LBB15_28
; %bb.27:
	ds_load_2addr_b64 v[8:11], v14 offset1:40
	s_waitcnt lgkmcnt(0)
	v_add_f64 v[8:9], v[10:11], v[8:9]
	ds_store_b64 v14, v[8:9]
.LBB15_28:
	s_or_b32 exec_lo, exec_lo, s0
	s_delay_alu instid0(SALU_CYCLE_1)
	s_mov_b32 s2, exec_lo
	s_waitcnt lgkmcnt(0)
	buffer_gl0_inv
	v_cmpx_gt_u32_e32 20, v0
	s_cbranch_execz .LBB15_30
; %bb.29:
	ds_load_2addr_b64 v[8:11], v14 offset1:20
	s_waitcnt lgkmcnt(0)
	v_add_f64 v[8:9], v[10:11], v[8:9]
	ds_store_b64 v14, v[8:9]
.LBB15_30:
	s_or_b32 exec_lo, exec_lo, s2
	s_waitcnt lgkmcnt(0)
	buffer_gl0_inv
	s_and_saveexec_b32 s0, vcc_lo
	s_cbranch_execz .LBB15_32
; %bb.31:
	ds_load_2addr_b64 v[8:11], v14 offset1:10
	s_waitcnt lgkmcnt(0)
	v_add_f64 v[8:9], v[10:11], v[8:9]
	ds_store_b64 v14, v[8:9]
.LBB15_32:
	s_or_b32 exec_lo, exec_lo, s0
	s_delay_alu instid0(SALU_CYCLE_1)
	s_mov_b32 s0, exec_lo
	s_waitcnt lgkmcnt(0)
	buffer_gl0_inv
                                        ; implicit-def: $vgpr8
	v_cmpx_gt_u32_e32 5, v0
; %bb.33:
	v_add_nc_u32_e32 v8, 5, v0
	s_or_b32 s1, s1, exec_lo
                                        ; implicit-def: $vgpr6_vgpr7
; %bb.34:
	s_or_b32 exec_lo, exec_lo, s0
	v_mov_b32_e32 v9, v14
.LBB15_35:
	s_and_saveexec_b32 s0, s1
	s_cbranch_execnz .LBB15_38
; %bb.36:
	s_or_b32 exec_lo, exec_lo, s0
	v_cmp_gt_u32_e32 vcc_lo, 5, v0
	s_and_b32 exec_lo, exec_lo, vcc_lo
	s_cbranch_execnz .LBB15_39
.LBB15_37:
	s_nop 0
	s_sendmsg sendmsg(MSG_DEALLOC_VGPRS)
	s_endpgm
.LBB15_38:
	v_lshlrev_b32_e32 v8, 3, v8
	ds_load_b64 v[6:7], v9
	ds_load_b64 v[8:9], v8
	s_waitcnt lgkmcnt(0)
	v_add_f64 v[6:7], v[6:7], v[8:9]
	s_or_b32 exec_lo, exec_lo, s0
	v_cmp_gt_u32_e32 vcc_lo, 5, v0
	s_and_b32 exec_lo, exec_lo, vcc_lo
	s_cbranch_execz .LBB15_37
.LBB15_39:
	s_delay_alu instid0(VALU_DEP_2)
	v_mul_f64 v[4:5], v[4:5], v[6:7]
	v_lshlrev_b64 v[0:1], 3, v[0:1]
	s_mul_i32 s0, s9, 40
	s_mul_hi_u32 s1, s8, 40
	s_mul_i32 s2, s8, 40
	s_mov_b32 s3, exec_lo
	v_cmpx_eq_f64_e32 0, v[2:3]
	s_xor_b32 s3, exec_lo, s3
	s_cbranch_execz .LBB15_41
; %bb.40:
	s_add_i32 s6, s1, s0
	s_add_u32 s7, s4, s2
	s_addc_u32 s6, s5, s6
	v_add_co_u32 v0, vcc_lo, s7, v0
	v_add_co_ci_u32_e32 v1, vcc_lo, s6, v1, vcc_lo
                                        ; implicit-def: $vgpr2_vgpr3
	global_store_b64 v[0:1], v[4:5], off
                                        ; implicit-def: $vgpr0_vgpr1
                                        ; implicit-def: $vgpr4_vgpr5
.LBB15_41:
	s_and_not1_saveexec_b32 s3, s3
	s_cbranch_execz .LBB15_37
; %bb.42:
	s_add_i32 s1, s1, s0
	s_add_u32 s0, s4, s2
	s_addc_u32 s1, s5, s1
	v_add_co_u32 v0, vcc_lo, s0, v0
	v_add_co_ci_u32_e32 v1, vcc_lo, s1, v1, vcc_lo
	global_load_b64 v[6:7], v[0:1], off
	s_waitcnt vmcnt(0)
	v_fma_f64 v[2:3], v[2:3], v[6:7], v[4:5]
	global_store_b64 v[0:1], v[2:3], off
	s_nop 0
	s_sendmsg sendmsg(MSG_DEALLOC_VGPRS)
	s_endpgm
	.section	.rodata,"a",@progbits
	.p2align	6, 0x0
	.amdhsa_kernel _ZN9rocsparseL18bsrxmvn_5x5_kernelILj50EdlldddEEvT2_20rocsparse_direction_NS_24const_host_device_scalarIT0_EES1_PKS1_PKT1_SA_S7_PKT3_PKT4_S5_PT5_21rocsparse_index_base_b
		.amdhsa_group_segment_fixed_size 400
		.amdhsa_private_segment_fixed_size 0
		.amdhsa_kernarg_size 104
		.amdhsa_user_sgpr_count 15
		.amdhsa_user_sgpr_dispatch_ptr 0
		.amdhsa_user_sgpr_queue_ptr 0
		.amdhsa_user_sgpr_kernarg_segment_ptr 1
		.amdhsa_user_sgpr_dispatch_id 0
		.amdhsa_user_sgpr_private_segment_size 0
		.amdhsa_wavefront_size32 1
		.amdhsa_uses_dynamic_stack 0
		.amdhsa_enable_private_segment 0
		.amdhsa_system_sgpr_workgroup_id_x 1
		.amdhsa_system_sgpr_workgroup_id_y 0
		.amdhsa_system_sgpr_workgroup_id_z 0
		.amdhsa_system_sgpr_workgroup_info 0
		.amdhsa_system_vgpr_workitem_id 0
		.amdhsa_next_free_vgpr 22
		.amdhsa_next_free_sgpr 20
		.amdhsa_reserve_vcc 1
		.amdhsa_float_round_mode_32 0
		.amdhsa_float_round_mode_16_64 0
		.amdhsa_float_denorm_mode_32 3
		.amdhsa_float_denorm_mode_16_64 3
		.amdhsa_dx10_clamp 1
		.amdhsa_ieee_mode 1
		.amdhsa_fp16_overflow 0
		.amdhsa_workgroup_processor_mode 1
		.amdhsa_memory_ordered 1
		.amdhsa_forward_progress 0
		.amdhsa_shared_vgpr_count 0
		.amdhsa_exception_fp_ieee_invalid_op 0
		.amdhsa_exception_fp_denorm_src 0
		.amdhsa_exception_fp_ieee_div_zero 0
		.amdhsa_exception_fp_ieee_overflow 0
		.amdhsa_exception_fp_ieee_underflow 0
		.amdhsa_exception_fp_ieee_inexact 0
		.amdhsa_exception_int_div_zero 0
	.end_amdhsa_kernel
	.section	.text._ZN9rocsparseL18bsrxmvn_5x5_kernelILj50EdlldddEEvT2_20rocsparse_direction_NS_24const_host_device_scalarIT0_EES1_PKS1_PKT1_SA_S7_PKT3_PKT4_S5_PT5_21rocsparse_index_base_b,"axG",@progbits,_ZN9rocsparseL18bsrxmvn_5x5_kernelILj50EdlldddEEvT2_20rocsparse_direction_NS_24const_host_device_scalarIT0_EES1_PKS1_PKT1_SA_S7_PKT3_PKT4_S5_PT5_21rocsparse_index_base_b,comdat
.Lfunc_end15:
	.size	_ZN9rocsparseL18bsrxmvn_5x5_kernelILj50EdlldddEEvT2_20rocsparse_direction_NS_24const_host_device_scalarIT0_EES1_PKS1_PKT1_SA_S7_PKT3_PKT4_S5_PT5_21rocsparse_index_base_b, .Lfunc_end15-_ZN9rocsparseL18bsrxmvn_5x5_kernelILj50EdlldddEEvT2_20rocsparse_direction_NS_24const_host_device_scalarIT0_EES1_PKS1_PKT1_SA_S7_PKT3_PKT4_S5_PT5_21rocsparse_index_base_b
                                        ; -- End function
	.section	.AMDGPU.csdata,"",@progbits
; Kernel info:
; codeLenInByte = 1612
; NumSgprs: 22
; NumVgprs: 22
; ScratchSize: 0
; MemoryBound: 1
; FloatMode: 240
; IeeeMode: 1
; LDSByteSize: 400 bytes/workgroup (compile time only)
; SGPRBlocks: 2
; VGPRBlocks: 2
; NumSGPRsForWavesPerEU: 22
; NumVGPRsForWavesPerEU: 22
; Occupancy: 16
; WaveLimiterHint : 1
; COMPUTE_PGM_RSRC2:SCRATCH_EN: 0
; COMPUTE_PGM_RSRC2:USER_SGPR: 15
; COMPUTE_PGM_RSRC2:TRAP_HANDLER: 0
; COMPUTE_PGM_RSRC2:TGID_X_EN: 1
; COMPUTE_PGM_RSRC2:TGID_Y_EN: 0
; COMPUTE_PGM_RSRC2:TGID_Z_EN: 0
; COMPUTE_PGM_RSRC2:TIDIG_COMP_CNT: 0
	.section	.text._ZN9rocsparseL18bsrxmvn_5x5_kernelILj50E21rocsparse_complex_numIfEllS2_S2_S2_EEvT2_20rocsparse_direction_NS_24const_host_device_scalarIT0_EES3_PKS3_PKT1_SC_S9_PKT3_PKT4_S7_PT5_21rocsparse_index_base_b,"axG",@progbits,_ZN9rocsparseL18bsrxmvn_5x5_kernelILj50E21rocsparse_complex_numIfEllS2_S2_S2_EEvT2_20rocsparse_direction_NS_24const_host_device_scalarIT0_EES3_PKS3_PKT1_SC_S9_PKT3_PKT4_S7_PT5_21rocsparse_index_base_b,comdat
	.globl	_ZN9rocsparseL18bsrxmvn_5x5_kernelILj50E21rocsparse_complex_numIfEllS2_S2_S2_EEvT2_20rocsparse_direction_NS_24const_host_device_scalarIT0_EES3_PKS3_PKT1_SC_S9_PKT3_PKT4_S7_PT5_21rocsparse_index_base_b ; -- Begin function _ZN9rocsparseL18bsrxmvn_5x5_kernelILj50E21rocsparse_complex_numIfEllS2_S2_S2_EEvT2_20rocsparse_direction_NS_24const_host_device_scalarIT0_EES3_PKS3_PKT1_SC_S9_PKT3_PKT4_S7_PT5_21rocsparse_index_base_b
	.p2align	8
	.type	_ZN9rocsparseL18bsrxmvn_5x5_kernelILj50E21rocsparse_complex_numIfEllS2_S2_S2_EEvT2_20rocsparse_direction_NS_24const_host_device_scalarIT0_EES3_PKS3_PKT1_SC_S9_PKT3_PKT4_S7_PT5_21rocsparse_index_base_b,@function
_ZN9rocsparseL18bsrxmvn_5x5_kernelILj50E21rocsparse_complex_numIfEllS2_S2_S2_EEvT2_20rocsparse_direction_NS_24const_host_device_scalarIT0_EES3_PKS3_PKT1_SC_S9_PKT3_PKT4_S7_PT5_21rocsparse_index_base_b: ; @_ZN9rocsparseL18bsrxmvn_5x5_kernelILj50E21rocsparse_complex_numIfEllS2_S2_S2_EEvT2_20rocsparse_direction_NS_24const_host_device_scalarIT0_EES3_PKS3_PKT1_SC_S9_PKT3_PKT4_S7_PT5_21rocsparse_index_base_b
; %bb.0:
	s_clause 0x2
	s_load_b64 s[10:11], s[0:1], 0x60
	s_load_b64 s[4:5], s[0:1], 0x10
	;; [unrolled: 1-line block ×3, first 2 shown]
	s_mov_b32 s8, s15
	s_waitcnt lgkmcnt(0)
	s_bitcmp1_b32 s11, 0
	v_mov_b32_e32 v12, s4
	s_cselect_b32 s6, -1, 0
	s_delay_alu instid0(SALU_CYCLE_1)
	s_and_b32 vcc_lo, exec_lo, s6
	s_xor_b32 s6, s6, -1
	s_cbranch_vccz .LBB16_12
; %bb.1:
	v_cndmask_b32_e64 v1, 0, 1, s6
	v_mov_b32_e32 v13, s5
	s_and_not1_b32 vcc_lo, exec_lo, s6
	s_cbranch_vccz .LBB16_13
.LBB16_2:
	s_delay_alu instid0(VALU_DEP_2)
	v_cmp_ne_u32_e32 vcc_lo, 1, v1
	v_mov_b32_e32 v10, s2
	s_cbranch_vccz .LBB16_14
.LBB16_3:
	v_cmp_ne_u32_e32 vcc_lo, 1, v1
	v_mov_b32_e32 v11, s3
	s_cbranch_vccnz .LBB16_5
.LBB16_4:
	v_dual_mov_b32 v1, s2 :: v_dual_mov_b32 v2, s3
	flat_load_b32 v11, v[1:2] offset:4
.LBB16_5:
	s_waitcnt vmcnt(0) lgkmcnt(0)
	v_cmp_eq_f32_e32 vcc_lo, 0, v12
	v_cmp_eq_f32_e64 s2, 0, v13
	s_delay_alu instid0(VALU_DEP_1)
	s_and_b32 s4, vcc_lo, s2
	s_mov_b32 s2, -1
	s_and_saveexec_b32 s3, s4
; %bb.6:
	v_cmp_neq_f32_e32 vcc_lo, 1.0, v10
	v_cmp_neq_f32_e64 s2, 0, v11
	s_delay_alu instid0(VALU_DEP_1) | instskip(NEXT) | instid1(SALU_CYCLE_1)
	s_or_b32 s2, vcc_lo, s2
	s_or_not1_b32 s2, s2, exec_lo
; %bb.7:
	s_or_b32 exec_lo, exec_lo, s3
	s_and_saveexec_b32 s3, s2
	s_cbranch_execz .LBB16_43
; %bb.8:
	s_clause 0x1
	s_load_b128 s[4:7], s[0:1], 0x20
	s_load_b64 s[12:13], s[0:1], 0x30
	s_mov_b32 s9, 0
	s_waitcnt lgkmcnt(0)
	s_cmp_eq_u64 s[4:5], 0
	s_cbranch_scc1 .LBB16_10
; %bb.9:
	s_lshl_b64 s[2:3], s[8:9], 3
	s_delay_alu instid0(SALU_CYCLE_1)
	s_add_u32 s2, s4, s2
	s_addc_u32 s3, s5, s3
	s_load_b64 s[2:3], s[2:3], 0x0
	s_waitcnt lgkmcnt(0)
	s_sub_u32 s8, s2, s10
	s_subb_u32 s9, s3, 0
.LBB16_10:
	s_load_b32 s3, s[0:1], 0x8
	v_mul_u32_u24_e32 v1, 0x3334, v0
	s_delay_alu instid0(VALU_DEP_1) | instskip(NEXT) | instid1(VALU_DEP_1)
	v_lshrrev_b32_e32 v4, 16, v1
	v_mul_lo_u16 v2, v4, 5
	s_waitcnt lgkmcnt(0)
	s_cmp_eq_u32 s3, 1
	s_cselect_b32 s2, -1, 0
	s_cmp_lg_u32 s3, 1
	s_cselect_b32 s11, -1, 0
	s_lshl_b64 s[4:5], s[8:9], 3
	s_delay_alu instid0(SALU_CYCLE_1)
	s_add_u32 s6, s6, s4
	s_addc_u32 s7, s7, s5
	s_add_u32 s3, s6, 8
	s_addc_u32 s14, s7, 0
	;; [unrolled: 2-line block ×3, first 2 shown]
	s_cmp_eq_u64 s[12:13], 0
	s_cselect_b32 s5, s14, s5
	s_cselect_b32 s4, s3, s4
	s_load_b64 s[6:7], s[6:7], 0x0
	s_load_b64 s[12:13], s[4:5], 0x0
	s_waitcnt lgkmcnt(0)
	v_cmp_lt_i64_e64 s3, s[6:7], s[12:13]
	s_delay_alu instid0(VALU_DEP_1)
	s_and_b32 vcc_lo, exec_lo, s3
	s_cbranch_vccnz .LBB16_15
; %bb.11:
	v_mov_b32_e32 v1, 0
	s_mov_b32 s3, 0
	s_branch .LBB16_16
.LBB16_12:
	v_dual_mov_b32 v1, s4 :: v_dual_mov_b32 v2, s5
	flat_load_b32 v12, v[1:2]
	v_cndmask_b32_e64 v1, 0, 1, s6
	v_mov_b32_e32 v13, s5
	s_and_not1_b32 vcc_lo, exec_lo, s6
	s_cbranch_vccnz .LBB16_2
.LBB16_13:
	v_dual_mov_b32 v2, s4 :: v_dual_mov_b32 v3, s5
	flat_load_b32 v13, v[2:3] offset:4
	v_cmp_ne_u32_e32 vcc_lo, 1, v1
	v_mov_b32_e32 v10, s2
	s_cbranch_vccnz .LBB16_3
.LBB16_14:
	v_dual_mov_b32 v2, s2 :: v_dual_mov_b32 v3, s3
	flat_load_b32 v10, v[2:3]
	v_cmp_ne_u32_e32 vcc_lo, 1, v1
	v_mov_b32_e32 v11, s3
	s_cbranch_vccz .LBB16_4
	s_branch .LBB16_5
.LBB16_15:
	s_mov_b32 s3, -1
.LBB16_16:
	s_load_b64 s[4:5], s[0:1], 0x58
	v_cndmask_b32_e64 v5, 0, 1, s3
	v_dual_mov_b32 v3, s3 :: v_dual_lshlrev_b32 v14, 3, v0
	v_sub_nc_u16 v15, v0, v2
	v_mov_b32_e32 v2, s3
	s_delay_alu instid0(VALU_DEP_4)
	v_cmp_ne_u32_e32 vcc_lo, 1, v5
	s_cbranch_vccnz .LBB16_21
; %bb.17:
	v_mul_lo_u16 v2, v4, 52
	v_mov_b32_e32 v1, 0
	s_clause 0x1
	s_load_b64 s[14:15], s[0:1], 0x48
	s_load_b128 s[16:19], s[0:1], 0x38
	s_mul_hi_u32 s1, s10, 0xc8
	v_lshrrev_b16 v5, 8, v2
	v_dual_mov_b32 v3, v1 :: v_dual_lshlrev_b32 v2, 3, v0
	v_and_b32_e32 v8, 0xffff, v0
	s_sub_u32 s0, s12, s10
	s_delay_alu instid0(VALU_DEP_3) | instskip(NEXT) | instid1(VALU_DEP_3)
	v_mul_lo_u16 v5, v5, 5
	v_mad_u64_u32 v[6:7], null, 0xc8, s6, v[2:3]
	v_and_b32_e32 v3, 0xffff, v15
	s_delay_alu instid0(VALU_DEP_3) | instskip(SKIP_1) | instid1(VALU_DEP_2)
	v_sub_nc_u16 v2, v4, v5
	v_mul_u32_u24_e32 v4, 0xa3e, v8
	v_dual_mov_b32 v2, v7 :: v_dual_and_b32 v5, 0xff, v2
	s_delay_alu instid0(VALU_DEP_2) | instskip(NEXT) | instid1(VALU_DEP_2)
	v_lshrrev_b32_e32 v16, 16, v4
	v_cndmask_b32_e64 v5, v3, v5, s2
	s_delay_alu instid0(VALU_DEP_3) | instskip(SKIP_1) | instid1(VALU_DEP_3)
	v_mad_u64_u32 v[3:4], null, 0xc8, s7, v[2:3]
	s_mul_i32 s2, s10, 0xc8
	v_add_co_u32 v7, s3, s6, v16
	s_delay_alu instid0(VALU_DEP_3)
	v_lshlrev_b32_e32 v2, 3, v5
	v_add_co_ci_u32_e64 v8, null, s7, 0, s3
	v_sub_co_u32 v6, vcc_lo, v6, s2
	v_subrev_co_ci_u32_e32 v9, vcc_lo, s1, v3, vcc_lo
	s_waitcnt lgkmcnt(0)
	v_add_co_u32 v4, s3, s14, v2
	v_sub_co_u32 v2, vcc_lo, v7, s10
	v_subrev_co_ci_u32_e32 v3, vcc_lo, 0, v8, vcc_lo
	v_add_co_u32 v6, vcc_lo, s18, v6
	v_add_co_ci_u32_e32 v7, vcc_lo, s19, v9, vcc_lo
	s_delay_alu instid0(VALU_DEP_3) | instskip(NEXT) | instid1(VALU_DEP_3)
	v_lshlrev_b64 v[2:3], 3, v[2:3]
	v_add_co_u32 v6, vcc_lo, v6, 4
	s_delay_alu instid0(VALU_DEP_3) | instskip(SKIP_1) | instid1(VALU_DEP_4)
	v_add_co_ci_u32_e32 v7, vcc_lo, 0, v7, vcc_lo
	v_add_co_ci_u32_e64 v5, null, s15, 0, s3
	v_add_co_u32 v8, vcc_lo, s16, v2
	v_add_co_ci_u32_e32 v9, vcc_lo, s17, v3, vcc_lo
	v_mov_b32_e32 v3, v1
	v_mov_b32_e32 v2, v1
	s_subb_u32 s1, s13, 0
	s_sub_u32 s2, s6, s10
	s_subb_u32 s3, s7, 0
	s_set_inst_prefetch_distance 0x1
	s_branch .LBB16_19
	.p2align	6
.LBB16_18:                              ;   in Loop: Header=BB16_19 Depth=1
	s_or_b32 exec_lo, exec_lo, s6
	s_add_u32 s2, s2, 2
	s_addc_u32 s3, s3, 0
	v_add_co_u32 v6, vcc_lo, 0x190, v6
	v_cmp_ge_i64_e64 s6, s[2:3], s[0:1]
	v_add_co_ci_u32_e32 v7, vcc_lo, 0, v7, vcc_lo
	v_add_co_u32 v8, vcc_lo, v8, 16
	v_add_co_ci_u32_e32 v9, vcc_lo, 0, v9, vcc_lo
	s_delay_alu instid0(VALU_DEP_4)
	s_and_b32 vcc_lo, exec_lo, s6
	s_cbranch_vccnz .LBB16_21
.LBB16_19:                              ; =>This Inner Loop Header: Depth=1
	v_add_co_u32 v17, s6, v16, s2
	s_delay_alu instid0(VALU_DEP_1) | instskip(SKIP_1) | instid1(VALU_DEP_1)
	v_add_co_ci_u32_e64 v18, null, 0, s3, s6
	s_mov_b32 s6, exec_lo
	v_cmpx_gt_i64_e64 s[0:1], v[17:18]
	s_cbranch_execz .LBB16_18
; %bb.20:                               ;   in Loop: Header=BB16_19 Depth=1
	global_load_b64 v[17:18], v[8:9], off
	s_waitcnt vmcnt(0)
	v_sub_co_u32 v19, vcc_lo, v17, s10
	v_subrev_co_ci_u32_e32 v21, vcc_lo, 0, v18, vcc_lo
	s_delay_alu instid0(VALU_DEP_2) | instskip(NEXT) | instid1(VALU_DEP_1)
	v_mad_u64_u32 v[17:18], null, v19, 40, v[4:5]
	v_mad_u64_u32 v[19:20], null, v21, 40, v[18:19]
	s_delay_alu instid0(VALU_DEP_1)
	v_mov_b32_e32 v18, v19
	global_load_b64 v[19:20], v[6:7], off offset:-4
	global_load_b64 v[17:18], v[17:18], off
	s_waitcnt vmcnt(0)
	v_fmac_f32_e32 v3, v20, v17
	v_fmac_f32_e32 v2, v19, v17
	s_delay_alu instid0(VALU_DEP_2) | instskip(NEXT) | instid1(VALU_DEP_2)
	v_fmac_f32_e32 v3, v19, v18
	v_fma_f32 v2, -v20, v18, v2
	s_branch .LBB16_18
.LBB16_21:
	s_set_inst_prefetch_distance 0x2
	s_and_b32 vcc_lo, exec_lo, s11
	ds_store_b64 v14, v[2:3]
	s_waitcnt lgkmcnt(0)
	buffer_gl0_inv
	s_cbranch_vccz .LBB16_31
; %bb.22:
	s_mov_b32 s0, exec_lo
	v_cmpx_gt_u32_e32 25, v0
	s_cbranch_execz .LBB16_24
; %bb.23:
	ds_load_2addr_b64 v[4:7], v14 offset1:25
	s_waitcnt lgkmcnt(0)
	v_dual_add_f32 v4, v6, v4 :: v_dual_add_f32 v5, v7, v5
	ds_store_b64 v14, v[4:5]
.LBB16_24:
	s_or_b32 exec_lo, exec_lo, s0
	s_delay_alu instid0(SALU_CYCLE_1)
	s_mov_b32 s0, exec_lo
	s_waitcnt lgkmcnt(0)
	buffer_gl0_inv
	v_cmpx_eq_u16_e32 0, v15
	s_cbranch_execz .LBB16_26
; %bb.25:
	ds_load_2addr_b64 v[4:7], v14 offset1:4
	s_waitcnt lgkmcnt(0)
	v_dual_add_f32 v4, v6, v4 :: v_dual_add_f32 v5, v7, v5
	ds_store_b64 v14, v[4:5]
.LBB16_26:
	s_or_b32 exec_lo, exec_lo, s0
	s_delay_alu instid0(SALU_CYCLE_1)
	s_mov_b32 s0, exec_lo
	s_waitcnt lgkmcnt(0)
	buffer_gl0_inv
	v_cmpx_gt_u16_e32 2, v15
	s_cbranch_execz .LBB16_28
; %bb.27:
	ds_load_2addr_b64 v[4:7], v14 offset1:2
	s_waitcnt lgkmcnt(0)
	v_dual_add_f32 v4, v6, v4 :: v_dual_add_f32 v5, v7, v5
	ds_store_b64 v14, v[4:5]
.LBB16_28:
	s_or_b32 exec_lo, exec_lo, s0
	s_mov_b32 s0, 0
	s_mov_b32 s1, 0
	s_mov_b32 s2, exec_lo
	s_waitcnt lgkmcnt(0)
	buffer_gl0_inv
                                        ; implicit-def: $vgpr5
                                        ; implicit-def: $vgpr4
	v_cmpx_gt_u32_e32 5, v0
	s_xor_b32 s2, exec_lo, s2
; %bb.29:
	v_lshl_add_u32 v5, v0, 5, v14
	v_mad_u32_u24 v4, v0, 5, 1
	s_mov_b32 s1, exec_lo
; %bb.30:
	s_or_b32 exec_lo, exec_lo, s2
	s_delay_alu instid0(SALU_CYCLE_1)
	s_and_b32 vcc_lo, exec_lo, s0
	s_cbranch_vccnz .LBB16_32
	s_branch .LBB16_41
.LBB16_31:
	s_mov_b32 s1, 0
                                        ; implicit-def: $vgpr5
                                        ; implicit-def: $vgpr4
	s_cbranch_execz .LBB16_41
.LBB16_32:
	v_cmp_gt_u32_e32 vcc_lo, 10, v0
	s_and_saveexec_b32 s0, vcc_lo
	s_cbranch_execz .LBB16_34
; %bb.33:
	ds_load_2addr_b64 v[4:7], v14 offset1:40
	s_waitcnt lgkmcnt(0)
	v_dual_add_f32 v4, v6, v4 :: v_dual_add_f32 v5, v7, v5
	ds_store_b64 v14, v[4:5]
.LBB16_34:
	s_or_b32 exec_lo, exec_lo, s0
	s_delay_alu instid0(SALU_CYCLE_1)
	s_mov_b32 s2, exec_lo
	s_waitcnt lgkmcnt(0)
	buffer_gl0_inv
	v_cmpx_gt_u32_e32 20, v0
	s_cbranch_execz .LBB16_36
; %bb.35:
	ds_load_2addr_b64 v[4:7], v14 offset1:20
	s_waitcnt lgkmcnt(0)
	v_dual_add_f32 v4, v6, v4 :: v_dual_add_f32 v5, v7, v5
	ds_store_b64 v14, v[4:5]
.LBB16_36:
	s_or_b32 exec_lo, exec_lo, s2
	s_waitcnt lgkmcnt(0)
	buffer_gl0_inv
	s_and_saveexec_b32 s0, vcc_lo
	s_cbranch_execz .LBB16_38
; %bb.37:
	ds_load_2addr_b64 v[4:7], v14 offset1:10
	s_waitcnt lgkmcnt(0)
	v_dual_add_f32 v4, v6, v4 :: v_dual_add_f32 v5, v7, v5
	ds_store_b64 v14, v[4:5]
.LBB16_38:
	s_or_b32 exec_lo, exec_lo, s0
	s_delay_alu instid0(SALU_CYCLE_1)
	s_mov_b32 s0, exec_lo
	s_waitcnt lgkmcnt(0)
	buffer_gl0_inv
                                        ; implicit-def: $vgpr4
	v_cmpx_gt_u32_e32 5, v0
; %bb.39:
	v_add_nc_u32_e32 v4, 5, v0
	s_or_b32 s1, s1, exec_lo
                                        ; implicit-def: $vgpr3
; %bb.40:
	s_or_b32 exec_lo, exec_lo, s0
	v_mov_b32_e32 v5, v14
.LBB16_41:
	s_and_saveexec_b32 s0, s1
	s_cbranch_execnz .LBB16_44
; %bb.42:
	s_or_b32 exec_lo, exec_lo, s0
	v_cmp_gt_u32_e32 vcc_lo, 5, v0
	s_and_b32 exec_lo, exec_lo, vcc_lo
	s_cbranch_execnz .LBB16_45
.LBB16_43:
	s_nop 0
	s_sendmsg sendmsg(MSG_DEALLOC_VGPRS)
	s_endpgm
.LBB16_44:
	v_lshlrev_b32_e32 v4, 3, v4
	ds_load_2addr_b32 v[2:3], v5 offset1:1
	ds_load_b64 v[4:5], v4
	s_waitcnt lgkmcnt(0)
	v_dual_add_f32 v3, v5, v3 :: v_dual_add_f32 v2, v4, v2
	s_or_b32 exec_lo, exec_lo, s0
	v_cmp_gt_u32_e32 vcc_lo, 5, v0
	s_and_b32 exec_lo, exec_lo, vcc_lo
	s_cbranch_execz .LBB16_43
.LBB16_45:
	v_mul_f32_e64 v4, v3, -v13
	v_mul_f32_e32 v5, v3, v12
	v_cmp_eq_f32_e32 vcc_lo, 0, v10
	v_cmp_eq_f32_e64 s0, 0, v11
	v_lshlrev_b64 v[0:1], 3, v[0:1]
	v_fmac_f32_e32 v4, v12, v2
	v_fmac_f32_e32 v5, v13, v2
	s_mul_hi_u32 s1, s8, 40
	s_and_b32 s3, vcc_lo, s0
	s_mul_i32 s0, s9, 40
	s_mul_i32 s2, s8, 40
	s_and_saveexec_b32 s6, s3
	s_delay_alu instid0(SALU_CYCLE_1)
	s_xor_b32 s3, exec_lo, s6
	s_cbranch_execz .LBB16_47
; %bb.46:
	s_add_i32 s6, s1, s0
	s_add_u32 s7, s4, s2
	s_addc_u32 s6, s5, s6
	v_add_co_u32 v0, vcc_lo, s7, v0
	v_add_co_ci_u32_e32 v1, vcc_lo, s6, v1, vcc_lo
                                        ; implicit-def: $vgpr10
                                        ; implicit-def: $vgpr11
	global_store_b64 v[0:1], v[4:5], off
                                        ; implicit-def: $vgpr0_vgpr1
                                        ; implicit-def: $vgpr4
.LBB16_47:
	s_and_not1_saveexec_b32 s3, s3
	s_cbranch_execz .LBB16_43
; %bb.48:
	s_add_i32 s1, s1, s0
	s_add_u32 s0, s4, s2
	s_addc_u32 s1, s5, s1
	v_add_co_u32 v0, vcc_lo, s0, v0
	v_add_co_ci_u32_e32 v1, vcc_lo, s1, v1, vcc_lo
	global_load_b64 v[2:3], v[0:1], off
	s_waitcnt vmcnt(0)
	v_fmac_f32_e32 v4, v10, v2
	v_fmac_f32_e32 v5, v11, v2
	s_delay_alu instid0(VALU_DEP_2) | instskip(NEXT) | instid1(VALU_DEP_2)
	v_fma_f32 v4, -v11, v3, v4
	v_fmac_f32_e32 v5, v10, v3
	global_store_b64 v[0:1], v[4:5], off
	s_nop 0
	s_sendmsg sendmsg(MSG_DEALLOC_VGPRS)
	s_endpgm
	.section	.rodata,"a",@progbits
	.p2align	6, 0x0
	.amdhsa_kernel _ZN9rocsparseL18bsrxmvn_5x5_kernelILj50E21rocsparse_complex_numIfEllS2_S2_S2_EEvT2_20rocsparse_direction_NS_24const_host_device_scalarIT0_EES3_PKS3_PKT1_SC_S9_PKT3_PKT4_S7_PT5_21rocsparse_index_base_b
		.amdhsa_group_segment_fixed_size 400
		.amdhsa_private_segment_fixed_size 0
		.amdhsa_kernarg_size 104
		.amdhsa_user_sgpr_count 15
		.amdhsa_user_sgpr_dispatch_ptr 0
		.amdhsa_user_sgpr_queue_ptr 0
		.amdhsa_user_sgpr_kernarg_segment_ptr 1
		.amdhsa_user_sgpr_dispatch_id 0
		.amdhsa_user_sgpr_private_segment_size 0
		.amdhsa_wavefront_size32 1
		.amdhsa_uses_dynamic_stack 0
		.amdhsa_enable_private_segment 0
		.amdhsa_system_sgpr_workgroup_id_x 1
		.amdhsa_system_sgpr_workgroup_id_y 0
		.amdhsa_system_sgpr_workgroup_id_z 0
		.amdhsa_system_sgpr_workgroup_info 0
		.amdhsa_system_vgpr_workitem_id 0
		.amdhsa_next_free_vgpr 22
		.amdhsa_next_free_sgpr 20
		.amdhsa_reserve_vcc 1
		.amdhsa_float_round_mode_32 0
		.amdhsa_float_round_mode_16_64 0
		.amdhsa_float_denorm_mode_32 3
		.amdhsa_float_denorm_mode_16_64 3
		.amdhsa_dx10_clamp 1
		.amdhsa_ieee_mode 1
		.amdhsa_fp16_overflow 0
		.amdhsa_workgroup_processor_mode 1
		.amdhsa_memory_ordered 1
		.amdhsa_forward_progress 0
		.amdhsa_shared_vgpr_count 0
		.amdhsa_exception_fp_ieee_invalid_op 0
		.amdhsa_exception_fp_denorm_src 0
		.amdhsa_exception_fp_ieee_div_zero 0
		.amdhsa_exception_fp_ieee_overflow 0
		.amdhsa_exception_fp_ieee_underflow 0
		.amdhsa_exception_fp_ieee_inexact 0
		.amdhsa_exception_int_div_zero 0
	.end_amdhsa_kernel
	.section	.text._ZN9rocsparseL18bsrxmvn_5x5_kernelILj50E21rocsparse_complex_numIfEllS2_S2_S2_EEvT2_20rocsparse_direction_NS_24const_host_device_scalarIT0_EES3_PKS3_PKT1_SC_S9_PKT3_PKT4_S7_PT5_21rocsparse_index_base_b,"axG",@progbits,_ZN9rocsparseL18bsrxmvn_5x5_kernelILj50E21rocsparse_complex_numIfEllS2_S2_S2_EEvT2_20rocsparse_direction_NS_24const_host_device_scalarIT0_EES3_PKS3_PKT1_SC_S9_PKT3_PKT4_S7_PT5_21rocsparse_index_base_b,comdat
.Lfunc_end16:
	.size	_ZN9rocsparseL18bsrxmvn_5x5_kernelILj50E21rocsparse_complex_numIfEllS2_S2_S2_EEvT2_20rocsparse_direction_NS_24const_host_device_scalarIT0_EES3_PKS3_PKT1_SC_S9_PKT3_PKT4_S7_PT5_21rocsparse_index_base_b, .Lfunc_end16-_ZN9rocsparseL18bsrxmvn_5x5_kernelILj50E21rocsparse_complex_numIfEllS2_S2_S2_EEvT2_20rocsparse_direction_NS_24const_host_device_scalarIT0_EES3_PKS3_PKT1_SC_S9_PKT3_PKT4_S7_PT5_21rocsparse_index_base_b
                                        ; -- End function
	.section	.AMDGPU.csdata,"",@progbits
; Kernel info:
; codeLenInByte = 1828
; NumSgprs: 22
; NumVgprs: 22
; ScratchSize: 0
; MemoryBound: 0
; FloatMode: 240
; IeeeMode: 1
; LDSByteSize: 400 bytes/workgroup (compile time only)
; SGPRBlocks: 2
; VGPRBlocks: 2
; NumSGPRsForWavesPerEU: 22
; NumVGPRsForWavesPerEU: 22
; Occupancy: 16
; WaveLimiterHint : 1
; COMPUTE_PGM_RSRC2:SCRATCH_EN: 0
; COMPUTE_PGM_RSRC2:USER_SGPR: 15
; COMPUTE_PGM_RSRC2:TRAP_HANDLER: 0
; COMPUTE_PGM_RSRC2:TGID_X_EN: 1
; COMPUTE_PGM_RSRC2:TGID_Y_EN: 0
; COMPUTE_PGM_RSRC2:TGID_Z_EN: 0
; COMPUTE_PGM_RSRC2:TIDIG_COMP_CNT: 0
	.section	.text._ZN9rocsparseL18bsrxmvn_5x5_kernelILj50E21rocsparse_complex_numIdEllS2_S2_S2_EEvT2_20rocsparse_direction_NS_24const_host_device_scalarIT0_EES3_PKS3_PKT1_SC_S9_PKT3_PKT4_S7_PT5_21rocsparse_index_base_b,"axG",@progbits,_ZN9rocsparseL18bsrxmvn_5x5_kernelILj50E21rocsparse_complex_numIdEllS2_S2_S2_EEvT2_20rocsparse_direction_NS_24const_host_device_scalarIT0_EES3_PKS3_PKT1_SC_S9_PKT3_PKT4_S7_PT5_21rocsparse_index_base_b,comdat
	.globl	_ZN9rocsparseL18bsrxmvn_5x5_kernelILj50E21rocsparse_complex_numIdEllS2_S2_S2_EEvT2_20rocsparse_direction_NS_24const_host_device_scalarIT0_EES3_PKS3_PKT1_SC_S9_PKT3_PKT4_S7_PT5_21rocsparse_index_base_b ; -- Begin function _ZN9rocsparseL18bsrxmvn_5x5_kernelILj50E21rocsparse_complex_numIdEllS2_S2_S2_EEvT2_20rocsparse_direction_NS_24const_host_device_scalarIT0_EES3_PKS3_PKT1_SC_S9_PKT3_PKT4_S7_PT5_21rocsparse_index_base_b
	.p2align	8
	.type	_ZN9rocsparseL18bsrxmvn_5x5_kernelILj50E21rocsparse_complex_numIdEllS2_S2_S2_EEvT2_20rocsparse_direction_NS_24const_host_device_scalarIT0_EES3_PKS3_PKT1_SC_S9_PKT3_PKT4_S7_PT5_21rocsparse_index_base_b,@function
_ZN9rocsparseL18bsrxmvn_5x5_kernelILj50E21rocsparse_complex_numIdEllS2_S2_S2_EEvT2_20rocsparse_direction_NS_24const_host_device_scalarIT0_EES3_PKS3_PKT1_SC_S9_PKT3_PKT4_S7_PT5_21rocsparse_index_base_b: ; @_ZN9rocsparseL18bsrxmvn_5x5_kernelILj50E21rocsparse_complex_numIdEllS2_S2_S2_EEvT2_20rocsparse_direction_NS_24const_host_device_scalarIT0_EES3_PKS3_PKT1_SC_S9_PKT3_PKT4_S7_PT5_21rocsparse_index_base_b
; %bb.0:
	s_mov_b32 s12, s15
	s_load_b64 s[14:15], s[2:3], 0x70
	s_load_b64 s[16:17], s[0:1], 0x4
	s_load_b128 s[8:11], s[2:3], 0x10
	v_bfe_u32 v1, v0, 10, 10
	s_mov_b64 s[0:1], src_shared_base
	s_load_b128 s[4:7], s[2:3], 0x58
	v_and_b32_e32 v6, 0x3ff, v0
	v_bfe_u32 v0, v0, 20, 10
	s_waitcnt lgkmcnt(0)
	s_bitcmp1_b32 s15, 0
	v_mul_u32_u24_e32 v1, s17, v1
	s_cselect_b32 s0, -1, 0
	v_mov_b32_e32 v13, s11
	s_and_b32 vcc_lo, s0, exec_lo
	s_cselect_b32 s13, s1, s9
	s_lshr_b32 s15, s16, 16
	v_mov_b32_e32 v2, s4
	s_mul_i32 s15, s15, s17
	v_mov_b32_e32 v12, s10
	v_mad_u32_u24 v1, s15, v6, v1
	s_xor_b32 s10, s0, -1
	v_mov_b32_e32 v5, s13
	v_mov_b32_e32 v3, s5
	s_delay_alu instid0(VALU_DEP_3) | instskip(SKIP_1) | instid1(VALU_DEP_2)
	v_add_lshl_u32 v7, v1, v0, 3
	v_dual_mov_b32 v0, s8 :: v_dual_mov_b32 v1, s9
	v_add_nc_u32_e32 v4, 0x4b0, v7
	ds_store_2addr_b64 v7, v[2:3], v[0:1] offset0:100 offset1:150
	v_add_nc_u32_e32 v0, 0x320, v7
	v_cndmask_b32_e64 v4, s8, v4, s0
	flat_load_b64 v[10:11], v[4:5]
	s_cbranch_vccnz .LBB17_2
; %bb.1:
	v_dual_mov_b32 v1, s8 :: v_dual_mov_b32 v2, s9
	flat_load_b64 v[12:13], v[1:2] offset:8
.LBB17_2:
	s_and_b32 s8, s0, exec_lo
	s_cselect_b32 s1, s1, s5
	v_cndmask_b32_e64 v0, s4, v0, s0
	v_mov_b32_e32 v1, s1
	v_dual_mov_b32 v9, s7 :: v_dual_mov_b32 v8, s6
	s_and_not1_b32 vcc_lo, exec_lo, s10
	flat_load_b64 v[4:5], v[0:1]
	s_cbranch_vccnz .LBB17_4
; %bb.3:
	v_dual_mov_b32 v0, s4 :: v_dual_mov_b32 v1, s5
	flat_load_b64 v[8:9], v[0:1] offset:8
.LBB17_4:
	s_waitcnt vmcnt(1) lgkmcnt(1)
	v_cmp_eq_f64_e32 vcc_lo, 0, v[10:11]
	v_cmp_eq_f64_e64 s0, 0, v[12:13]
	s_delay_alu instid0(VALU_DEP_1)
	s_and_b32 s4, vcc_lo, s0
	s_mov_b32 s0, -1
	s_and_saveexec_b32 s1, s4
	s_cbranch_execz .LBB17_6
; %bb.5:
	s_waitcnt vmcnt(0) lgkmcnt(0)
	v_cmp_neq_f64_e32 vcc_lo, 1.0, v[4:5]
	v_cmp_neq_f64_e64 s0, 0, v[8:9]
	s_delay_alu instid0(VALU_DEP_1) | instskip(NEXT) | instid1(SALU_CYCLE_1)
	s_or_b32 s0, vcc_lo, s0
	s_or_not1_b32 s0, s0, exec_lo
.LBB17_6:
	s_or_b32 exec_lo, exec_lo, s1
	s_and_saveexec_b32 s1, s0
	s_cbranch_execz .LBB17_42
; %bb.7:
	s_clause 0x1
	s_load_b128 s[4:7], s[2:3], 0x28
	s_load_b64 s[8:9], s[2:3], 0x38
	s_mov_b32 s13, 0
	s_waitcnt lgkmcnt(0)
	s_cmp_eq_u64 s[4:5], 0
	s_cbranch_scc1 .LBB17_9
; %bb.8:
	s_lshl_b64 s[0:1], s[12:13], 3
	s_delay_alu instid0(SALU_CYCLE_1)
	s_add_u32 s0, s4, s0
	s_addc_u32 s1, s5, s1
	s_load_b64 s[0:1], s[0:1], 0x0
	s_waitcnt lgkmcnt(0)
	s_sub_u32 s12, s0, s14
	s_subb_u32 s13, s1, 0
.LBB17_9:
	s_load_b32 s1, s[2:3], 0x8
	v_mul_u32_u24_e32 v0, 0x3334, v6
	s_delay_alu instid0(VALU_DEP_1) | instskip(NEXT) | instid1(VALU_DEP_1)
	v_lshrrev_b32_e32 v16, 16, v0
	v_mul_lo_u16 v0, v16, 5
	s_waitcnt lgkmcnt(0)
	s_cmp_eq_u32 s1, 1
	s_cselect_b32 s0, -1, 0
	s_cmp_lg_u32 s1, 1
	s_cselect_b32 s15, -1, 0
	s_lshl_b64 s[4:5], s[12:13], 3
	s_delay_alu instid0(SALU_CYCLE_1)
	s_add_u32 s6, s6, s4
	s_addc_u32 s7, s7, s5
	s_add_u32 s1, s6, 8
	s_addc_u32 s10, s7, 0
	;; [unrolled: 2-line block ×3, first 2 shown]
	s_cmp_eq_u64 s[8:9], 0
	s_cselect_b32 s5, s10, s5
	s_cselect_b32 s4, s1, s4
	s_load_b64 s[6:7], s[6:7], 0x0
	s_load_b64 s[8:9], s[4:5], 0x0
	s_waitcnt lgkmcnt(0)
	v_cmp_lt_i64_e64 s1, s[6:7], s[8:9]
	s_delay_alu instid0(VALU_DEP_1)
	s_and_b32 vcc_lo, exec_lo, s1
	s_cbranch_vccnz .LBB17_11
; %bb.10:
	v_mov_b32_e32 v7, 0
	s_mov_b32 s1, 0
	s_mov_b64 s[10:11], 0
	s_branch .LBB17_12
.LBB17_11:
	s_mov_b32 s1, -1
                                        ; implicit-def: $sgpr10_sgpr11
.LBB17_12:
	s_load_b64 s[4:5], s[2:3], 0x68
	v_sub_nc_u16 v21, v6, v0
	v_mov_b32_e32 v0, s10
	v_dual_mov_b32 v2, s10 :: v_dual_mov_b32 v3, s11
	v_dual_mov_b32 v1, s11 :: v_dual_lshlrev_b32 v14, 4, v6
	s_and_not1_b32 vcc_lo, exec_lo, s1
	s_cbranch_vccnz .LBB17_17
; %bb.13:
	v_mul_lo_u16 v0, v16, 52
	v_and_b32_e32 v3, 0xffff, v6
	s_clause 0x1
	s_load_b64 s[10:11], s[2:3], 0x50
	s_load_b128 s[16:19], s[2:3], 0x40
	s_mul_i32 s1, s14, 0x190
	v_lshrrev_b16 v0, 8, v0
	v_mul_u32_u24_e32 v3, 0xa3e, v3
	s_sub_u32 s2, s8, s14
	s_delay_alu instid0(VALU_DEP_2) | instskip(NEXT) | instid1(VALU_DEP_2)
	v_mul_lo_u16 v2, v0, 5
	v_lshrrev_b32_e32 v22, 16, v3
	s_delay_alu instid0(VALU_DEP_2) | instskip(NEXT) | instid1(VALU_DEP_1)
	v_sub_nc_u16 v2, v16, v2
	v_dual_mov_b32 v7, 0 :: v_dual_and_b32 v2, 0xff, v2
	s_delay_alu instid0(VALU_DEP_1) | instskip(NEXT) | instid1(VALU_DEP_1)
	v_mov_b32_e32 v15, v7
	v_mad_u64_u32 v[0:1], null, 0x190, s6, v[14:15]
	v_and_b32_e32 v15, 0xffff, v21
	s_delay_alu instid0(VALU_DEP_1) | instskip(NEXT) | instid1(VALU_DEP_3)
	v_cndmask_b32_e64 v15, v15, v2, s0
	v_mad_u64_u32 v[2:3], null, 0x190, s7, v[1:2]
	v_add_co_u32 v3, s3, s6, v22
	s_mul_hi_u32 s0, s14, 0x190
	s_delay_alu instid0(VALU_DEP_3)
	v_lshlrev_b32_e32 v1, 4, v15
	v_add_co_ci_u32_e64 v17, null, s7, 0, s3
	v_sub_co_u32 v18, vcc_lo, v0, s1
	v_subrev_co_ci_u32_e32 v2, vcc_lo, s0, v2, vcc_lo
	v_sub_co_u32 v0, vcc_lo, v3, s14
	s_waitcnt lgkmcnt(0)
	v_add_co_u32 v15, s3, s10, v1
	v_subrev_co_ci_u32_e32 v1, vcc_lo, 0, v17, vcc_lo
	v_add_co_u32 v17, vcc_lo, s18, v18
	v_add_co_ci_u32_e32 v18, vcc_lo, s19, v2, vcc_lo
	s_delay_alu instid0(VALU_DEP_3) | instskip(SKIP_1) | instid1(VALU_DEP_4)
	v_lshlrev_b64 v[0:1], 3, v[0:1]
	v_mov_b32_e32 v2, 0
	v_add_co_u32 v17, vcc_lo, v17, 8
	v_mov_b32_e32 v3, 0
	v_add_co_ci_u32_e32 v18, vcc_lo, 0, v18, vcc_lo
	v_add_co_u32 v19, vcc_lo, s16, v0
	v_add_co_ci_u32_e32 v20, vcc_lo, s17, v1, vcc_lo
	v_mov_b32_e32 v0, v2
	v_add_co_ci_u32_e64 v16, null, s11, 0, s3
	v_mov_b32_e32 v1, v3
	s_subb_u32 s3, s9, 0
	s_sub_u32 s0, s6, s14
	s_subb_u32 s1, s7, 0
	s_set_inst_prefetch_distance 0x1
	s_branch .LBB17_15
	.p2align	6
.LBB17_14:                              ;   in Loop: Header=BB17_15 Depth=1
	s_or_b32 exec_lo, exec_lo, s6
	s_add_u32 s0, s0, 2
	s_addc_u32 s1, s1, 0
	v_add_co_u32 v17, vcc_lo, 0x320, v17
	v_cmp_ge_i64_e64 s6, s[0:1], s[2:3]
	v_add_co_ci_u32_e32 v18, vcc_lo, 0, v18, vcc_lo
	v_add_co_u32 v19, vcc_lo, v19, 16
	v_add_co_ci_u32_e32 v20, vcc_lo, 0, v20, vcc_lo
	s_delay_alu instid0(VALU_DEP_4)
	s_and_b32 vcc_lo, exec_lo, s6
	s_cbranch_vccnz .LBB17_17
.LBB17_15:                              ; =>This Inner Loop Header: Depth=1
	v_add_co_u32 v23, s6, v22, s0
	s_delay_alu instid0(VALU_DEP_1) | instskip(SKIP_1) | instid1(VALU_DEP_1)
	v_add_co_ci_u32_e64 v24, null, 0, s1, s6
	s_mov_b32 s6, exec_lo
	v_cmpx_gt_i64_e64 s[2:3], v[23:24]
	s_cbranch_execz .LBB17_14
; %bb.16:                               ;   in Loop: Header=BB17_15 Depth=1
	global_load_b64 v[23:24], v[19:20], off
	s_waitcnt vmcnt(0)
	v_sub_co_u32 v23, vcc_lo, v23, s14
	v_subrev_co_ci_u32_e32 v26, vcc_lo, 0, v24, vcc_lo
	s_delay_alu instid0(VALU_DEP_2) | instskip(NEXT) | instid1(VALU_DEP_1)
	v_mad_u64_u32 v[27:28], null, 0x50, v23, v[15:16]
	v_mov_b32_e32 v23, v28
	s_delay_alu instid0(VALU_DEP_1) | instskip(NEXT) | instid1(VALU_DEP_1)
	v_mad_u64_u32 v[24:25], null, 0x50, v26, v[23:24]
	v_mov_b32_e32 v28, v24
	global_load_b128 v[23:26], v[17:18], off offset:-8
	global_load_b128 v[27:30], v[27:28], off
	s_waitcnt vmcnt(0)
	v_fma_f64 v[0:1], v[23:24], v[27:28], v[0:1]
	v_fma_f64 v[2:3], v[25:26], v[27:28], v[2:3]
	s_delay_alu instid0(VALU_DEP_2) | instskip(NEXT) | instid1(VALU_DEP_2)
	v_fma_f64 v[0:1], -v[25:26], v[29:30], v[0:1]
	v_fma_f64 v[2:3], v[23:24], v[29:30], v[2:3]
	s_branch .LBB17_14
.LBB17_17:
	s_set_inst_prefetch_distance 0x2
	s_and_b32 vcc_lo, exec_lo, s15
	ds_store_b128 v14, v[0:3]
	s_waitcnt vmcnt(0) lgkmcnt(0)
	buffer_gl0_inv
	s_cbranch_vccz .LBB17_27
; %bb.18:
	s_mov_b32 s0, exec_lo
	v_cmpx_gt_u32_e32 25, v6
	s_cbranch_execz .LBB17_20
; %bb.19:
	ds_load_b128 v[15:18], v14 offset:400
	ds_load_b128 v[22:25], v14
	s_waitcnt lgkmcnt(0)
	v_add_f64 v[15:16], v[15:16], v[22:23]
	v_add_f64 v[17:18], v[17:18], v[24:25]
	ds_store_b128 v14, v[15:18]
.LBB17_20:
	s_or_b32 exec_lo, exec_lo, s0
	s_delay_alu instid0(SALU_CYCLE_1)
	s_mov_b32 s0, exec_lo
	s_waitcnt lgkmcnt(0)
	buffer_gl0_inv
	v_cmpx_eq_u16_e32 0, v21
	s_cbranch_execz .LBB17_22
; %bb.21:
	ds_load_b128 v[15:18], v14 offset:64
	ds_load_b128 v[22:25], v14
	s_waitcnt lgkmcnt(0)
	v_add_f64 v[15:16], v[15:16], v[22:23]
	v_add_f64 v[17:18], v[17:18], v[24:25]
	ds_store_b128 v14, v[15:18]
.LBB17_22:
	s_or_b32 exec_lo, exec_lo, s0
	s_delay_alu instid0(SALU_CYCLE_1)
	s_mov_b32 s0, exec_lo
	s_waitcnt lgkmcnt(0)
	buffer_gl0_inv
	v_cmpx_gt_u16_e32 2, v21
	s_cbranch_execz .LBB17_24
; %bb.23:
	ds_load_b128 v[15:18], v14
	ds_load_b128 v[19:22], v14 offset:32
	s_waitcnt lgkmcnt(0)
	v_add_f64 v[15:16], v[19:20], v[15:16]
	v_add_f64 v[17:18], v[21:22], v[17:18]
	ds_store_b128 v14, v[15:18]
.LBB17_24:
	s_or_b32 exec_lo, exec_lo, s0
	v_dual_mov_b32 v18, v3 :: v_dual_mov_b32 v17, v2
	v_dual_mov_b32 v16, v1 :: v_dual_mov_b32 v15, v0
	s_mov_b32 s0, exec_lo
	s_waitcnt lgkmcnt(0)
	buffer_gl0_inv
	v_cmpx_gt_u32_e32 5, v6
	s_cbranch_execz .LBB17_26
; %bb.25:
	v_lshl_add_u32 v19, v6, 6, v14
	ds_load_b128 v[15:18], v19
	ds_load_b128 v[19:22], v19 offset:16
	s_waitcnt lgkmcnt(0)
	v_add_f64 v[15:16], v[19:20], v[15:16]
	v_add_f64 v[17:18], v[21:22], v[17:18]
.LBB17_26:
	s_or_b32 exec_lo, exec_lo, s0
	s_branch .LBB17_37
.LBB17_27:
                                        ; implicit-def: $vgpr17_vgpr18
                                        ; implicit-def: $vgpr15_vgpr16
	s_cbranch_execz .LBB17_37
; %bb.28:
	v_cmp_gt_u32_e32 vcc_lo, 10, v6
	s_and_saveexec_b32 s0, vcc_lo
	s_cbranch_execz .LBB17_30
; %bb.29:
	ds_load_b128 v[15:18], v14 offset:640
	ds_load_b128 v[19:22], v14
	s_waitcnt lgkmcnt(0)
	v_add_f64 v[15:16], v[15:16], v[19:20]
	v_add_f64 v[17:18], v[17:18], v[21:22]
	ds_store_b128 v14, v[15:18]
.LBB17_30:
	s_or_b32 exec_lo, exec_lo, s0
	s_delay_alu instid0(SALU_CYCLE_1)
	s_mov_b32 s1, exec_lo
	s_waitcnt lgkmcnt(0)
	buffer_gl0_inv
	v_cmpx_gt_u32_e32 20, v6
	s_cbranch_execz .LBB17_32
; %bb.31:
	ds_load_b128 v[15:18], v14 offset:320
	ds_load_b128 v[19:22], v14
	s_waitcnt lgkmcnt(0)
	v_add_f64 v[15:16], v[15:16], v[19:20]
	v_add_f64 v[17:18], v[17:18], v[21:22]
	ds_store_b128 v14, v[15:18]
.LBB17_32:
	s_or_b32 exec_lo, exec_lo, s1
	s_waitcnt lgkmcnt(0)
	buffer_gl0_inv
	s_and_saveexec_b32 s0, vcc_lo
	s_cbranch_execz .LBB17_34
; %bb.33:
	ds_load_b128 v[15:18], v14 offset:160
	ds_load_b128 v[19:22], v14
	s_waitcnt lgkmcnt(0)
	v_add_f64 v[15:16], v[15:16], v[19:20]
	v_add_f64 v[17:18], v[17:18], v[21:22]
	ds_store_b128 v14, v[15:18]
.LBB17_34:
	s_or_b32 exec_lo, exec_lo, s0
	s_delay_alu instid0(SALU_CYCLE_1)
	s_mov_b32 s0, exec_lo
	s_waitcnt lgkmcnt(0)
	buffer_gl0_inv
	v_cmpx_gt_u32_e32 5, v6
	s_cbranch_execz .LBB17_36
; %bb.35:
	ds_load_b128 v[0:3], v14 offset:80
	ds_load_b128 v[14:17], v14
	s_waitcnt lgkmcnt(0)
	v_add_f64 v[0:1], v[0:1], v[14:15]
	v_add_f64 v[2:3], v[2:3], v[16:17]
.LBB17_36:
	s_or_b32 exec_lo, exec_lo, s0
	s_delay_alu instid0(VALU_DEP_1) | instskip(NEXT) | instid1(VALU_DEP_3)
	v_dual_mov_b32 v18, v3 :: v_dual_mov_b32 v17, v2
	v_dual_mov_b32 v16, v1 :: v_dual_mov_b32 v15, v0
.LBB17_37:
	v_cmp_gt_u32_e32 vcc_lo, 5, v6
	s_and_b32 exec_lo, exec_lo, vcc_lo
	s_cbranch_execz .LBB17_42
; %bb.38:
	s_delay_alu instid0(VALU_DEP_2)
	v_mul_f64 v[0:1], v[17:18], -v[12:13]
	v_mul_f64 v[2:3], v[10:11], v[17:18]
	v_cmp_eq_f64_e32 vcc_lo, 0, v[4:5]
	v_cmp_eq_f64_e64 s0, 0, v[8:9]
	v_lshlrev_b64 v[6:7], 4, v[6:7]
	s_mul_hi_u32 s1, s12, 0x50
	s_mul_i32 s2, s12, 0x50
	v_fma_f64 v[0:1], v[10:11], v[15:16], v[0:1]
	v_fma_f64 v[2:3], v[12:13], v[15:16], v[2:3]
	s_delay_alu instid0(VALU_DEP_4) | instskip(SKIP_2) | instid1(SALU_CYCLE_1)
	s_and_b32 s3, vcc_lo, s0
	s_mul_i32 s0, s13, 0x50
	s_and_saveexec_b32 s6, s3
	s_xor_b32 s3, exec_lo, s6
	s_cbranch_execz .LBB17_40
; %bb.39:
	s_add_i32 s6, s1, s0
	s_add_u32 s7, s4, s2
	s_addc_u32 s6, s5, s6
	v_add_co_u32 v4, vcc_lo, s7, v6
	v_add_co_ci_u32_e32 v5, vcc_lo, s6, v7, vcc_lo
                                        ; implicit-def: $vgpr6_vgpr7
                                        ; implicit-def: $vgpr8_vgpr9
	global_store_b128 v[4:5], v[0:3], off
                                        ; implicit-def: $vgpr4_vgpr5
                                        ; implicit-def: $vgpr0_vgpr1
.LBB17_40:
	s_and_not1_saveexec_b32 s3, s3
	s_cbranch_execz .LBB17_42
; %bb.41:
	s_add_i32 s1, s1, s0
	s_add_u32 s0, s4, s2
	s_addc_u32 s1, s5, s1
	v_add_co_u32 v6, vcc_lo, s0, v6
	v_add_co_ci_u32_e32 v7, vcc_lo, s1, v7, vcc_lo
	global_load_b128 v[10:13], v[6:7], off
	s_waitcnt vmcnt(0)
	v_fma_f64 v[0:1], v[4:5], v[10:11], v[0:1]
	v_fma_f64 v[2:3], v[8:9], v[10:11], v[2:3]
	s_delay_alu instid0(VALU_DEP_2) | instskip(NEXT) | instid1(VALU_DEP_2)
	v_fma_f64 v[0:1], -v[8:9], v[12:13], v[0:1]
	v_fma_f64 v[2:3], v[4:5], v[12:13], v[2:3]
	global_store_b128 v[6:7], v[0:3], off
.LBB17_42:
	s_nop 0
	s_sendmsg sendmsg(MSG_DEALLOC_VGPRS)
	s_endpgm
	.section	.rodata,"a",@progbits
	.p2align	6, 0x0
	.amdhsa_kernel _ZN9rocsparseL18bsrxmvn_5x5_kernelILj50E21rocsparse_complex_numIdEllS2_S2_S2_EEvT2_20rocsparse_direction_NS_24const_host_device_scalarIT0_EES3_PKS3_PKT1_SC_S9_PKT3_PKT4_S7_PT5_21rocsparse_index_base_b
		.amdhsa_group_segment_fixed_size 1600
		.amdhsa_private_segment_fixed_size 0
		.amdhsa_kernarg_size 120
		.amdhsa_user_sgpr_count 15
		.amdhsa_user_sgpr_dispatch_ptr 1
		.amdhsa_user_sgpr_queue_ptr 0
		.amdhsa_user_sgpr_kernarg_segment_ptr 1
		.amdhsa_user_sgpr_dispatch_id 0
		.amdhsa_user_sgpr_private_segment_size 0
		.amdhsa_wavefront_size32 1
		.amdhsa_uses_dynamic_stack 0
		.amdhsa_enable_private_segment 0
		.amdhsa_system_sgpr_workgroup_id_x 1
		.amdhsa_system_sgpr_workgroup_id_y 0
		.amdhsa_system_sgpr_workgroup_id_z 0
		.amdhsa_system_sgpr_workgroup_info 0
		.amdhsa_system_vgpr_workitem_id 2
		.amdhsa_next_free_vgpr 31
		.amdhsa_next_free_sgpr 20
		.amdhsa_reserve_vcc 1
		.amdhsa_float_round_mode_32 0
		.amdhsa_float_round_mode_16_64 0
		.amdhsa_float_denorm_mode_32 3
		.amdhsa_float_denorm_mode_16_64 3
		.amdhsa_dx10_clamp 1
		.amdhsa_ieee_mode 1
		.amdhsa_fp16_overflow 0
		.amdhsa_workgroup_processor_mode 1
		.amdhsa_memory_ordered 1
		.amdhsa_forward_progress 0
		.amdhsa_shared_vgpr_count 0
		.amdhsa_exception_fp_ieee_invalid_op 0
		.amdhsa_exception_fp_denorm_src 0
		.amdhsa_exception_fp_ieee_div_zero 0
		.amdhsa_exception_fp_ieee_overflow 0
		.amdhsa_exception_fp_ieee_underflow 0
		.amdhsa_exception_fp_ieee_inexact 0
		.amdhsa_exception_int_div_zero 0
	.end_amdhsa_kernel
	.section	.text._ZN9rocsparseL18bsrxmvn_5x5_kernelILj50E21rocsparse_complex_numIdEllS2_S2_S2_EEvT2_20rocsparse_direction_NS_24const_host_device_scalarIT0_EES3_PKS3_PKT1_SC_S9_PKT3_PKT4_S7_PT5_21rocsparse_index_base_b,"axG",@progbits,_ZN9rocsparseL18bsrxmvn_5x5_kernelILj50E21rocsparse_complex_numIdEllS2_S2_S2_EEvT2_20rocsparse_direction_NS_24const_host_device_scalarIT0_EES3_PKS3_PKT1_SC_S9_PKT3_PKT4_S7_PT5_21rocsparse_index_base_b,comdat
.Lfunc_end17:
	.size	_ZN9rocsparseL18bsrxmvn_5x5_kernelILj50E21rocsparse_complex_numIdEllS2_S2_S2_EEvT2_20rocsparse_direction_NS_24const_host_device_scalarIT0_EES3_PKS3_PKT1_SC_S9_PKT3_PKT4_S7_PT5_21rocsparse_index_base_b, .Lfunc_end17-_ZN9rocsparseL18bsrxmvn_5x5_kernelILj50E21rocsparse_complex_numIdEllS2_S2_S2_EEvT2_20rocsparse_direction_NS_24const_host_device_scalarIT0_EES3_PKS3_PKT1_SC_S9_PKT3_PKT4_S7_PT5_21rocsparse_index_base_b
                                        ; -- End function
	.section	.AMDGPU.csdata,"",@progbits
; Kernel info:
; codeLenInByte = 2028
; NumSgprs: 22
; NumVgprs: 31
; ScratchSize: 0
; MemoryBound: 1
; FloatMode: 240
; IeeeMode: 1
; LDSByteSize: 1600 bytes/workgroup (compile time only)
; SGPRBlocks: 2
; VGPRBlocks: 3
; NumSGPRsForWavesPerEU: 22
; NumVGPRsForWavesPerEU: 31
; Occupancy: 16
; WaveLimiterHint : 1
; COMPUTE_PGM_RSRC2:SCRATCH_EN: 0
; COMPUTE_PGM_RSRC2:USER_SGPR: 15
; COMPUTE_PGM_RSRC2:TRAP_HANDLER: 0
; COMPUTE_PGM_RSRC2:TGID_X_EN: 1
; COMPUTE_PGM_RSRC2:TGID_Y_EN: 0
; COMPUTE_PGM_RSRC2:TGID_Z_EN: 0
; COMPUTE_PGM_RSRC2:TIDIG_COMP_CNT: 2
	.section	.text._ZN9rocsparseL18bsrxmvn_5x5_kernelILj50EiiiaaiEEvT2_20rocsparse_direction_NS_24const_host_device_scalarIT0_EES1_PKS1_PKT1_SA_S7_PKT3_PKT4_S5_PT5_21rocsparse_index_base_b,"axG",@progbits,_ZN9rocsparseL18bsrxmvn_5x5_kernelILj50EiiiaaiEEvT2_20rocsparse_direction_NS_24const_host_device_scalarIT0_EES1_PKS1_PKT1_SA_S7_PKT3_PKT4_S5_PT5_21rocsparse_index_base_b,comdat
	.globl	_ZN9rocsparseL18bsrxmvn_5x5_kernelILj50EiiiaaiEEvT2_20rocsparse_direction_NS_24const_host_device_scalarIT0_EES1_PKS1_PKT1_SA_S7_PKT3_PKT4_S5_PT5_21rocsparse_index_base_b ; -- Begin function _ZN9rocsparseL18bsrxmvn_5x5_kernelILj50EiiiaaiEEvT2_20rocsparse_direction_NS_24const_host_device_scalarIT0_EES1_PKS1_PKT1_SA_S7_PKT3_PKT4_S5_PT5_21rocsparse_index_base_b
	.p2align	8
	.type	_ZN9rocsparseL18bsrxmvn_5x5_kernelILj50EiiiaaiEEvT2_20rocsparse_direction_NS_24const_host_device_scalarIT0_EES1_PKS1_PKT1_SA_S7_PKT3_PKT4_S5_PT5_21rocsparse_index_base_b,@function
_ZN9rocsparseL18bsrxmvn_5x5_kernelILj50EiiiaaiEEvT2_20rocsparse_direction_NS_24const_host_device_scalarIT0_EES1_PKS1_PKT1_SA_S7_PKT3_PKT4_S5_PT5_21rocsparse_index_base_b: ; @_ZN9rocsparseL18bsrxmvn_5x5_kernelILj50EiiiaaiEEvT2_20rocsparse_direction_NS_24const_host_device_scalarIT0_EES1_PKS1_PKT1_SA_S7_PKT3_PKT4_S5_PT5_21rocsparse_index_base_b
; %bb.0:
	s_clause 0x1
	s_load_b64 s[10:11], s[0:1], 0x58
	s_load_b64 s[6:7], s[0:1], 0x8
	s_mov_b32 s2, s15
	s_mov_b32 s8, -1
	s_waitcnt lgkmcnt(0)
	s_bitcmp1_b32 s11, 0
                                        ; implicit-def: $sgpr11
	s_cselect_b32 s3, -1, 0
	s_delay_alu instid0(SALU_CYCLE_1) | instskip(NEXT) | instid1(SALU_CYCLE_1)
	s_xor_b32 s3, s3, -1
	s_and_b32 vcc_lo, exec_lo, s3
	s_cbranch_vccnz .LBB18_4
; %bb.1:
	s_load_b64 s[4:5], s[0:1], 0x48
	s_and_not1_b32 vcc_lo, exec_lo, s8
	s_cbranch_vccz .LBB18_5
.LBB18_2:
	s_and_b32 vcc_lo, exec_lo, s3
	s_cbranch_vccz .LBB18_6
.LBB18_3:
	s_waitcnt lgkmcnt(0)
	s_load_b32 s12, s[4:5], 0x0
	s_cbranch_execz .LBB18_7
	s_branch .LBB18_8
.LBB18_4:
	s_load_b32 s11, s[6:7], 0x0
	s_load_b64 s[4:5], s[0:1], 0x48
	s_cbranch_execnz .LBB18_2
.LBB18_5:
	s_waitcnt lgkmcnt(0)
	s_mov_b32 s11, s6
	s_and_b32 vcc_lo, exec_lo, s3
	s_cbranch_vccnz .LBB18_3
.LBB18_6:
                                        ; implicit-def: $sgpr12
.LBB18_7:
	s_waitcnt lgkmcnt(0)
	s_mov_b32 s12, s4
.LBB18_8:
	s_waitcnt lgkmcnt(0)
	s_cmp_lg_u32 s11, 0
	s_cselect_b32 s3, -1, 0
	s_cmp_lg_u32 s12, 1
	s_cselect_b32 s4, -1, 0
	s_delay_alu instid0(SALU_CYCLE_1) | instskip(NEXT) | instid1(SALU_CYCLE_1)
	s_or_b32 s3, s3, s4
	s_and_not1_b32 vcc_lo, exec_lo, s3
	s_cbranch_vccnz .LBB18_42
; %bb.9:
	s_clause 0x1
	s_load_b128 s[4:7], s[0:1], 0x18
	s_load_b64 s[8:9], s[0:1], 0x28
	s_waitcnt lgkmcnt(0)
	s_cmp_eq_u64 s[4:5], 0
	s_cbranch_scc1 .LBB18_11
; %bb.10:
	s_ashr_i32 s3, s2, 31
	s_delay_alu instid0(SALU_CYCLE_1) | instskip(NEXT) | instid1(SALU_CYCLE_1)
	s_lshl_b64 s[2:3], s[2:3], 2
	s_add_u32 s2, s4, s2
	s_addc_u32 s3, s5, s3
	s_load_b32 s2, s[2:3], 0x0
	s_waitcnt lgkmcnt(0)
	s_sub_i32 s2, s2, s10
.LBB18_11:
	s_load_b32 s3, s[0:1], 0x4
	v_mul_u32_u24_e32 v1, 0x3334, v0
	v_mov_b32_e32 v4, 0
	s_delay_alu instid0(VALU_DEP_2) | instskip(NEXT) | instid1(VALU_DEP_1)
	v_lshrrev_b32_e32 v1, 16, v1
	v_mul_lo_u16 v2, v1, 5
	s_delay_alu instid0(VALU_DEP_1)
	v_sub_nc_u16 v5, v0, v2
	s_waitcnt lgkmcnt(0)
	s_cmp_eq_u32 s3, 1
	s_cselect_b32 vcc_lo, -1, 0
	s_cmp_lg_u32 s3, 1
	s_cselect_b32 s13, -1, 0
	s_ashr_i32 s3, s2, 31
	s_delay_alu instid0(SALU_CYCLE_1) | instskip(NEXT) | instid1(SALU_CYCLE_1)
	s_lshl_b64 s[4:5], s[2:3], 2
	s_add_u32 s6, s6, s4
	s_addc_u32 s7, s7, s5
	s_add_u32 s3, s6, 4
	s_addc_u32 s14, s7, 0
	;; [unrolled: 2-line block ×3, first 2 shown]
	s_cmp_eq_u64 s[8:9], 0
	s_load_b64 s[8:9], s[0:1], 0x50
	s_cselect_b32 s5, s14, s5
	s_cselect_b32 s4, s3, s4
	s_load_b32 s14, s[6:7], 0x0
	s_load_b32 s3, s[4:5], 0x0
	s_waitcnt lgkmcnt(0)
	s_cmp_ge_i32 s14, s3
	s_cbranch_scc1 .LBB18_16
; %bb.12:
	v_mul_lo_u16 v2, v1, 52
	s_clause 0x1
	s_load_b128 s[4:7], s[0:1], 0x30
	s_load_b64 s[0:1], s[0:1], 0x40
	v_and_b32_e32 v3, 0xffff, v0
	s_mul_i32 s15, s10, 25
	s_sub_i32 s3, s3, s10
	v_lshrrev_b16 v2, 8, v2
	s_delay_alu instid0(VALU_DEP_1) | instskip(NEXT) | instid1(VALU_DEP_1)
	v_mul_lo_u16 v2, v2, 5
	v_sub_nc_u16 v4, v1, v2
	v_mad_u64_u32 v[1:2], null, s14, 25, v[0:1]
	v_and_b32_e32 v2, 0xffff, v5
	s_sub_i32 s14, s14, s10
	s_delay_alu instid0(VALU_DEP_3) | instskip(NEXT) | instid1(VALU_DEP_3)
	v_and_b32_e32 v4, 0xff, v4
	v_subrev_nc_u32_e32 v6, s15, v1
	s_delay_alu instid0(VALU_DEP_2) | instskip(SKIP_1) | instid1(VALU_DEP_1)
	v_dual_cndmask_b32 v1, v2, v4 :: v_dual_mov_b32 v4, 0
	v_mul_u32_u24_e32 v3, 0xa3e, v3
	v_lshrrev_b32_e32 v7, 16, v3
	s_set_inst_prefetch_distance 0x1
	s_branch .LBB18_14
	.p2align	6
.LBB18_13:                              ;   in Loop: Header=BB18_14 Depth=1
	s_or_b32 exec_lo, exec_lo, s15
	v_add_nc_u32_e32 v6, 50, v6
	s_add_i32 s14, s14, 2
	s_delay_alu instid0(SALU_CYCLE_1)
	s_cmp_ge_i32 s14, s3
	s_cbranch_scc1 .LBB18_16
.LBB18_14:                              ; =>This Inner Loop Header: Depth=1
	s_delay_alu instid0(VALU_DEP_1) | instskip(SKIP_1) | instid1(VALU_DEP_1)
	v_add_nc_u32_e32 v2, s14, v7
	s_mov_b32 s15, exec_lo
	v_cmpx_gt_i32_e64 s3, v2
	s_cbranch_execz .LBB18_13
; %bb.15:                               ;   in Loop: Header=BB18_14 Depth=1
	v_ashrrev_i32_e32 v3, 31, v2
	s_delay_alu instid0(VALU_DEP_1) | instskip(SKIP_1) | instid1(VALU_DEP_1)
	v_lshlrev_b64 v[2:3], 2, v[2:3]
	s_waitcnt lgkmcnt(0)
	v_add_co_u32 v2, vcc_lo, s4, v2
	s_delay_alu instid0(VALU_DEP_2) | instskip(SKIP_3) | instid1(VALU_DEP_1)
	v_add_co_ci_u32_e32 v3, vcc_lo, s5, v3, vcc_lo
	global_load_b32 v2, v[2:3], off
	s_waitcnt vmcnt(0)
	v_subrev_nc_u32_e32 v8, s10, v2
	v_mad_u64_u32 v[2:3], null, v8, 5, v[1:2]
	s_delay_alu instid0(VALU_DEP_1) | instskip(SKIP_1) | instid1(VALU_DEP_2)
	v_ashrrev_i32_e32 v3, 31, v2
	v_add_co_u32 v2, vcc_lo, s0, v2
	v_add_co_ci_u32_e32 v3, vcc_lo, s1, v3, vcc_lo
	global_load_i8 v8, v6, s[6:7]
	global_load_i8 v2, v[2:3], off
	s_waitcnt vmcnt(0)
	v_mad_i32_i24 v4, v2, v8, v4
	s_branch .LBB18_13
.LBB18_16:
	s_set_inst_prefetch_distance 0x2
	v_lshlrev_b32_e32 v1, 2, v0
	s_and_b32 vcc_lo, exec_lo, s13
	ds_store_b32 v1, v4
	s_waitcnt lgkmcnt(0)
	buffer_gl0_inv
	s_cbranch_vccz .LBB18_26
; %bb.17:
	s_mov_b32 s0, exec_lo
	v_cmpx_gt_u32_e32 25, v0
	s_cbranch_execz .LBB18_19
; %bb.18:
	ds_load_2addr_b32 v[2:3], v1 offset1:25
	s_waitcnt lgkmcnt(0)
	v_add_nc_u32_e32 v2, v2, v3
	ds_store_b32 v1, v2
.LBB18_19:
	s_or_b32 exec_lo, exec_lo, s0
	s_delay_alu instid0(SALU_CYCLE_1)
	s_mov_b32 s0, exec_lo
	s_waitcnt lgkmcnt(0)
	buffer_gl0_inv
	v_cmpx_eq_u16_e32 0, v5
	s_cbranch_execz .LBB18_21
; %bb.20:
	ds_load_2addr_b32 v[2:3], v1 offset1:4
	s_waitcnt lgkmcnt(0)
	v_add_nc_u32_e32 v2, v2, v3
	ds_store_b32 v1, v2
.LBB18_21:
	s_or_b32 exec_lo, exec_lo, s0
	s_delay_alu instid0(SALU_CYCLE_1)
	s_mov_b32 s0, exec_lo
	s_waitcnt lgkmcnt(0)
	buffer_gl0_inv
	v_cmpx_gt_u16_e32 2, v5
	s_cbranch_execz .LBB18_23
; %bb.22:
	ds_load_2addr_b32 v[2:3], v1 offset1:2
	s_waitcnt lgkmcnt(0)
	v_add_nc_u32_e32 v2, v2, v3
	ds_store_b32 v1, v2
.LBB18_23:
	s_or_b32 exec_lo, exec_lo, s0
	s_mov_b32 s0, 0
	s_mov_b32 s1, 0
	s_mov_b32 s3, exec_lo
	s_waitcnt lgkmcnt(0)
	buffer_gl0_inv
                                        ; implicit-def: $vgpr2
                                        ; implicit-def: $vgpr3
	v_cmpx_gt_u32_e32 5, v0
	s_xor_b32 s3, exec_lo, s3
; %bb.24:
	v_mul_u32_u24_e32 v3, 5, v0
	v_mad_u32_u24 v2, v0, 5, 1
	s_mov_b32 s1, exec_lo
	s_delay_alu instid0(VALU_DEP_2)
	v_lshlrev_b32_e32 v3, 2, v3
; %bb.25:
	s_or_b32 exec_lo, exec_lo, s3
	s_delay_alu instid0(SALU_CYCLE_1)
	s_and_b32 vcc_lo, exec_lo, s0
	s_cbranch_vccnz .LBB18_27
	s_branch .LBB18_36
.LBB18_26:
	s_mov_b32 s1, 0
                                        ; implicit-def: $vgpr2
                                        ; implicit-def: $vgpr3
	s_cbranch_execz .LBB18_36
.LBB18_27:
	v_cmp_gt_u32_e32 vcc_lo, 10, v0
	s_and_saveexec_b32 s0, vcc_lo
	s_cbranch_execz .LBB18_29
; %bb.28:
	ds_load_2addr_b32 v[2:3], v1 offset1:40
	s_waitcnt lgkmcnt(0)
	v_add_nc_u32_e32 v2, v2, v3
	ds_store_b32 v1, v2
.LBB18_29:
	s_or_b32 exec_lo, exec_lo, s0
	s_delay_alu instid0(SALU_CYCLE_1)
	s_mov_b32 s3, exec_lo
	s_waitcnt lgkmcnt(0)
	buffer_gl0_inv
	v_cmpx_gt_u32_e32 20, v0
	s_cbranch_execz .LBB18_31
; %bb.30:
	ds_load_2addr_b32 v[2:3], v1 offset1:20
	s_waitcnt lgkmcnt(0)
	v_add_nc_u32_e32 v2, v2, v3
	ds_store_b32 v1, v2
.LBB18_31:
	s_or_b32 exec_lo, exec_lo, s3
	s_waitcnt lgkmcnt(0)
	buffer_gl0_inv
	s_and_saveexec_b32 s0, vcc_lo
	s_cbranch_execz .LBB18_33
; %bb.32:
	ds_load_2addr_b32 v[2:3], v1 offset1:10
	s_waitcnt lgkmcnt(0)
	v_add_nc_u32_e32 v2, v2, v3
	ds_store_b32 v1, v2
.LBB18_33:
	s_or_b32 exec_lo, exec_lo, s0
	s_delay_alu instid0(SALU_CYCLE_1)
	s_mov_b32 s0, exec_lo
	s_waitcnt lgkmcnt(0)
	buffer_gl0_inv
                                        ; implicit-def: $vgpr2
	v_cmpx_gt_u32_e32 5, v0
; %bb.34:
	v_add_nc_u32_e32 v2, 5, v0
	s_or_b32 s1, s1, exec_lo
                                        ; implicit-def: $vgpr4
; %bb.35:
	s_or_b32 exec_lo, exec_lo, s0
	v_mov_b32_e32 v3, v1
.LBB18_36:
	s_and_saveexec_b32 s0, s1
	s_cbranch_execz .LBB18_38
; %bb.37:
	v_lshlrev_b32_e32 v1, 2, v2
	ds_load_b32 v2, v3
	ds_load_b32 v1, v1
	s_waitcnt lgkmcnt(0)
	v_add_nc_u32_e32 v4, v1, v2
.LBB18_38:
	s_or_b32 exec_lo, exec_lo, s0
	s_delay_alu instid0(SALU_CYCLE_1)
	s_mov_b32 s0, exec_lo
	v_cmpx_gt_u32_e32 5, v0
	s_cbranch_execz .LBB18_42
; %bb.39:
	v_mul_lo_u32 v1, v4, s11
	s_cmp_eq_u32 s12, 0
	s_mov_b32 s0, 0
	s_cbranch_scc1 .LBB18_43
; %bb.40:
	s_delay_alu instid0(VALU_DEP_1) | instskip(SKIP_1) | instid1(VALU_DEP_1)
	v_mad_u64_u32 v[2:3], null, s2, 5, v[0:1]
	v_mov_b32_e32 v3, 0
	v_lshlrev_b64 v[2:3], 2, v[2:3]
	s_delay_alu instid0(VALU_DEP_1) | instskip(NEXT) | instid1(VALU_DEP_2)
	v_add_co_u32 v2, vcc_lo, s8, v2
	v_add_co_ci_u32_e32 v3, vcc_lo, s9, v3, vcc_lo
	global_load_b32 v6, v[2:3], off
	s_waitcnt vmcnt(0)
	v_mad_u64_u32 v[4:5], null, v6, s12, v[1:2]
	global_store_b32 v[2:3], v4, off
	s_and_not1_b32 vcc_lo, exec_lo, s0
	s_cbranch_vccnz .LBB18_42
.LBB18_41:
	s_delay_alu instid0(VALU_DEP_1) | instskip(SKIP_1) | instid1(VALU_DEP_1)
	v_mad_u64_u32 v[2:3], null, s2, 5, v[0:1]
	v_mov_b32_e32 v3, 0
	v_lshlrev_b64 v[2:3], 2, v[2:3]
	s_delay_alu instid0(VALU_DEP_1) | instskip(NEXT) | instid1(VALU_DEP_2)
	v_add_co_u32 v2, vcc_lo, s8, v2
	v_add_co_ci_u32_e32 v3, vcc_lo, s9, v3, vcc_lo
	global_store_b32 v[2:3], v1, off
.LBB18_42:
	s_nop 0
	s_sendmsg sendmsg(MSG_DEALLOC_VGPRS)
	s_endpgm
.LBB18_43:
	s_branch .LBB18_41
	.section	.rodata,"a",@progbits
	.p2align	6, 0x0
	.amdhsa_kernel _ZN9rocsparseL18bsrxmvn_5x5_kernelILj50EiiiaaiEEvT2_20rocsparse_direction_NS_24const_host_device_scalarIT0_EES1_PKS1_PKT1_SA_S7_PKT3_PKT4_S5_PT5_21rocsparse_index_base_b
		.amdhsa_group_segment_fixed_size 200
		.amdhsa_private_segment_fixed_size 0
		.amdhsa_kernarg_size 96
		.amdhsa_user_sgpr_count 15
		.amdhsa_user_sgpr_dispatch_ptr 0
		.amdhsa_user_sgpr_queue_ptr 0
		.amdhsa_user_sgpr_kernarg_segment_ptr 1
		.amdhsa_user_sgpr_dispatch_id 0
		.amdhsa_user_sgpr_private_segment_size 0
		.amdhsa_wavefront_size32 1
		.amdhsa_uses_dynamic_stack 0
		.amdhsa_enable_private_segment 0
		.amdhsa_system_sgpr_workgroup_id_x 1
		.amdhsa_system_sgpr_workgroup_id_y 0
		.amdhsa_system_sgpr_workgroup_id_z 0
		.amdhsa_system_sgpr_workgroup_info 0
		.amdhsa_system_vgpr_workitem_id 0
		.amdhsa_next_free_vgpr 9
		.amdhsa_next_free_sgpr 16
		.amdhsa_reserve_vcc 1
		.amdhsa_float_round_mode_32 0
		.amdhsa_float_round_mode_16_64 0
		.amdhsa_float_denorm_mode_32 3
		.amdhsa_float_denorm_mode_16_64 3
		.amdhsa_dx10_clamp 1
		.amdhsa_ieee_mode 1
		.amdhsa_fp16_overflow 0
		.amdhsa_workgroup_processor_mode 1
		.amdhsa_memory_ordered 1
		.amdhsa_forward_progress 0
		.amdhsa_shared_vgpr_count 0
		.amdhsa_exception_fp_ieee_invalid_op 0
		.amdhsa_exception_fp_denorm_src 0
		.amdhsa_exception_fp_ieee_div_zero 0
		.amdhsa_exception_fp_ieee_overflow 0
		.amdhsa_exception_fp_ieee_underflow 0
		.amdhsa_exception_fp_ieee_inexact 0
		.amdhsa_exception_int_div_zero 0
	.end_amdhsa_kernel
	.section	.text._ZN9rocsparseL18bsrxmvn_5x5_kernelILj50EiiiaaiEEvT2_20rocsparse_direction_NS_24const_host_device_scalarIT0_EES1_PKS1_PKT1_SA_S7_PKT3_PKT4_S5_PT5_21rocsparse_index_base_b,"axG",@progbits,_ZN9rocsparseL18bsrxmvn_5x5_kernelILj50EiiiaaiEEvT2_20rocsparse_direction_NS_24const_host_device_scalarIT0_EES1_PKS1_PKT1_SA_S7_PKT3_PKT4_S5_PT5_21rocsparse_index_base_b,comdat
.Lfunc_end18:
	.size	_ZN9rocsparseL18bsrxmvn_5x5_kernelILj50EiiiaaiEEvT2_20rocsparse_direction_NS_24const_host_device_scalarIT0_EES1_PKS1_PKT1_SA_S7_PKT3_PKT4_S5_PT5_21rocsparse_index_base_b, .Lfunc_end18-_ZN9rocsparseL18bsrxmvn_5x5_kernelILj50EiiiaaiEEvT2_20rocsparse_direction_NS_24const_host_device_scalarIT0_EES1_PKS1_PKT1_SA_S7_PKT3_PKT4_S5_PT5_21rocsparse_index_base_b
                                        ; -- End function
	.section	.AMDGPU.csdata,"",@progbits
; Kernel info:
; codeLenInByte = 1372
; NumSgprs: 18
; NumVgprs: 9
; ScratchSize: 0
; MemoryBound: 0
; FloatMode: 240
; IeeeMode: 1
; LDSByteSize: 200 bytes/workgroup (compile time only)
; SGPRBlocks: 2
; VGPRBlocks: 1
; NumSGPRsForWavesPerEU: 18
; NumVGPRsForWavesPerEU: 9
; Occupancy: 16
; WaveLimiterHint : 1
; COMPUTE_PGM_RSRC2:SCRATCH_EN: 0
; COMPUTE_PGM_RSRC2:USER_SGPR: 15
; COMPUTE_PGM_RSRC2:TRAP_HANDLER: 0
; COMPUTE_PGM_RSRC2:TGID_X_EN: 1
; COMPUTE_PGM_RSRC2:TGID_Y_EN: 0
; COMPUTE_PGM_RSRC2:TGID_Z_EN: 0
; COMPUTE_PGM_RSRC2:TIDIG_COMP_CNT: 0
	.section	.text._ZN9rocsparseL18bsrxmvn_5x5_kernelILj50EiliaaiEEvT2_20rocsparse_direction_NS_24const_host_device_scalarIT0_EES1_PKS1_PKT1_SA_S7_PKT3_PKT4_S5_PT5_21rocsparse_index_base_b,"axG",@progbits,_ZN9rocsparseL18bsrxmvn_5x5_kernelILj50EiliaaiEEvT2_20rocsparse_direction_NS_24const_host_device_scalarIT0_EES1_PKS1_PKT1_SA_S7_PKT3_PKT4_S5_PT5_21rocsparse_index_base_b,comdat
	.globl	_ZN9rocsparseL18bsrxmvn_5x5_kernelILj50EiliaaiEEvT2_20rocsparse_direction_NS_24const_host_device_scalarIT0_EES1_PKS1_PKT1_SA_S7_PKT3_PKT4_S5_PT5_21rocsparse_index_base_b ; -- Begin function _ZN9rocsparseL18bsrxmvn_5x5_kernelILj50EiliaaiEEvT2_20rocsparse_direction_NS_24const_host_device_scalarIT0_EES1_PKS1_PKT1_SA_S7_PKT3_PKT4_S5_PT5_21rocsparse_index_base_b
	.p2align	8
	.type	_ZN9rocsparseL18bsrxmvn_5x5_kernelILj50EiliaaiEEvT2_20rocsparse_direction_NS_24const_host_device_scalarIT0_EES1_PKS1_PKT1_SA_S7_PKT3_PKT4_S5_PT5_21rocsparse_index_base_b,@function
_ZN9rocsparseL18bsrxmvn_5x5_kernelILj50EiliaaiEEvT2_20rocsparse_direction_NS_24const_host_device_scalarIT0_EES1_PKS1_PKT1_SA_S7_PKT3_PKT4_S5_PT5_21rocsparse_index_base_b: ; @_ZN9rocsparseL18bsrxmvn_5x5_kernelILj50EiliaaiEEvT2_20rocsparse_direction_NS_24const_host_device_scalarIT0_EES1_PKS1_PKT1_SA_S7_PKT3_PKT4_S5_PT5_21rocsparse_index_base_b
; %bb.0:
	s_clause 0x1
	s_load_b64 s[10:11], s[0:1], 0x58
	s_load_b64 s[4:5], s[0:1], 0x8
	s_mov_b32 s8, s15
	s_mov_b32 s7, -1
	s_waitcnt lgkmcnt(0)
	s_bitcmp1_b32 s11, 0
                                        ; implicit-def: $sgpr11
	s_cselect_b32 s2, -1, 0
	s_delay_alu instid0(SALU_CYCLE_1) | instskip(NEXT) | instid1(SALU_CYCLE_1)
	s_xor_b32 s6, s2, -1
	s_and_b32 vcc_lo, exec_lo, s6
	s_cbranch_vccnz .LBB19_4
; %bb.1:
	s_load_b64 s[2:3], s[0:1], 0x48
	s_and_not1_b32 vcc_lo, exec_lo, s7
	s_cbranch_vccz .LBB19_5
.LBB19_2:
	s_and_b32 vcc_lo, exec_lo, s6
	s_cbranch_vccz .LBB19_6
.LBB19_3:
	s_waitcnt lgkmcnt(0)
	s_load_b32 s14, s[2:3], 0x0
	s_cbranch_execz .LBB19_7
	s_branch .LBB19_8
.LBB19_4:
	s_load_b32 s11, s[4:5], 0x0
	s_load_b64 s[2:3], s[0:1], 0x48
	s_cbranch_execnz .LBB19_2
.LBB19_5:
	s_waitcnt lgkmcnt(0)
	s_mov_b32 s11, s4
	s_and_b32 vcc_lo, exec_lo, s6
	s_cbranch_vccnz .LBB19_3
.LBB19_6:
	s_waitcnt lgkmcnt(0)
                                        ; implicit-def: $sgpr14
.LBB19_7:
	s_waitcnt lgkmcnt(0)
	s_mov_b32 s14, s2
.LBB19_8:
	s_cmp_lg_u32 s11, 0
	s_cselect_b32 s2, -1, 0
	s_waitcnt lgkmcnt(0)
	s_cmp_lg_u32 s14, 1
	s_cselect_b32 s3, -1, 0
	s_delay_alu instid0(SALU_CYCLE_1) | instskip(NEXT) | instid1(SALU_CYCLE_1)
	s_or_b32 s2, s2, s3
	s_and_not1_b32 vcc_lo, exec_lo, s2
	s_cbranch_vccnz .LBB19_42
; %bb.9:
	s_clause 0x1
	s_load_b128 s[4:7], s[0:1], 0x18
	s_load_b64 s[12:13], s[0:1], 0x28
	s_waitcnt lgkmcnt(0)
	s_cmp_eq_u64 s[4:5], 0
	s_cbranch_scc1 .LBB19_11
; %bb.10:
	s_ashr_i32 s9, s8, 31
	s_delay_alu instid0(SALU_CYCLE_1) | instskip(NEXT) | instid1(SALU_CYCLE_1)
	s_lshl_b64 s[2:3], s[8:9], 2
	s_add_u32 s2, s4, s2
	s_addc_u32 s3, s5, s3
	s_load_b32 s2, s[2:3], 0x0
	s_waitcnt lgkmcnt(0)
	s_sub_i32 s8, s2, s10
.LBB19_11:
	s_load_b32 s3, s[0:1], 0x4
	v_mul_u32_u24_e32 v1, 0x3334, v0
	s_delay_alu instid0(VALU_DEP_1) | instskip(NEXT) | instid1(VALU_DEP_1)
	v_lshrrev_b32_e32 v2, 16, v1
	v_mul_lo_u16 v1, v2, 5
	s_delay_alu instid0(VALU_DEP_1)
	v_sub_nc_u16 v7, v0, v1
	v_mov_b32_e32 v1, 0
	s_waitcnt lgkmcnt(0)
	s_cmp_eq_u32 s3, 1
	s_cselect_b32 s2, -1, 0
	s_cmp_lg_u32 s3, 1
	s_cselect_b32 s15, -1, 0
	s_ashr_i32 s9, s8, 31
	s_delay_alu instid0(SALU_CYCLE_1) | instskip(NEXT) | instid1(SALU_CYCLE_1)
	s_lshl_b64 s[4:5], s[8:9], 3
	s_add_u32 s6, s6, s4
	s_addc_u32 s7, s7, s5
	s_add_u32 s3, s6, 8
	s_addc_u32 s9, s7, 0
	;; [unrolled: 2-line block ×3, first 2 shown]
	s_cmp_eq_u64 s[12:13], 0
	s_cselect_b32 s5, s9, s5
	s_cselect_b32 s4, s3, s4
	s_load_b64 s[12:13], s[6:7], 0x0
	s_load_b64 s[6:7], s[4:5], 0x0
	;; [unrolled: 1-line block ×3, first 2 shown]
	s_waitcnt lgkmcnt(0)
	v_cmp_ge_i64_e64 s3, s[12:13], s[6:7]
	s_delay_alu instid0(VALU_DEP_1)
	s_and_b32 vcc_lo, exec_lo, s3
	s_cbranch_vccnz .LBB19_16
; %bb.12:
	v_mul_lo_u16 v3, v2, 52
	v_dual_mov_b32 v1, 0 :: v_dual_and_b32 v6, 0xffff, v0
	s_clause 0x1
	s_load_b128 s[16:19], s[0:1], 0x30
	s_load_b64 s[0:1], s[0:1], 0x40
	v_and_b32_e32 v9, 0xffff, v7
	v_lshrrev_b16 v5, 8, v3
	v_mad_u64_u32 v[3:4], null, s12, 25, v[0:1]
	v_mul_u32_u24_e32 v6, 0xa3e, v6
	s_mul_i32 s9, s10, 25
	s_delay_alu instid0(VALU_DEP_3)
	v_mul_lo_u16 v5, v5, 5
	s_mul_hi_u32 s3, s10, 25
	s_sub_u32 s6, s6, s10
	v_lshrrev_b32_e32 v8, 16, v6
	s_subb_u32 s7, s7, 0
	v_sub_nc_u16 v2, v2, v5
	v_mad_u64_u32 v[5:6], null, s13, 25, v[4:5]
	s_delay_alu instid0(VALU_DEP_3) | instskip(NEXT) | instid1(VALU_DEP_3)
	v_add_co_u32 v4, s20, s12, v8
	v_and_b32_e32 v2, 0xff, v2
	v_add_co_ci_u32_e64 v6, null, s13, 0, s20
	s_delay_alu instid0(VALU_DEP_3) | instskip(NEXT) | instid1(VALU_DEP_3)
	v_sub_co_u32 v4, vcc_lo, v4, s10
	v_cndmask_b32_e64 v2, v9, v2, s2
	v_mov_b32_e32 v9, v5
	s_delay_alu instid0(VALU_DEP_4) | instskip(SKIP_1) | instid1(VALU_DEP_3)
	v_subrev_co_ci_u32_e32 v5, vcc_lo, 0, v6, vcc_lo
	v_sub_co_u32 v3, vcc_lo, v3, s9
	v_subrev_co_ci_u32_e32 v9, vcc_lo, s3, v9, vcc_lo
	s_delay_alu instid0(VALU_DEP_3) | instskip(SKIP_1) | instid1(VALU_DEP_3)
	v_lshlrev_b64 v[5:6], 2, v[4:5]
	s_waitcnt lgkmcnt(0)
	v_add_co_u32 v3, vcc_lo, s18, v3
	s_delay_alu instid0(VALU_DEP_3) | instskip(SKIP_1) | instid1(VALU_DEP_3)
	v_add_co_ci_u32_e32 v4, vcc_lo, s19, v9, vcc_lo
	s_sub_u32 s2, s12, s10
	v_add_co_u32 v5, vcc_lo, s16, v5
	v_add_co_ci_u32_e32 v6, vcc_lo, s17, v6, vcc_lo
	s_subb_u32 s3, s13, 0
	s_set_inst_prefetch_distance 0x1
	s_branch .LBB19_14
	.p2align	6
.LBB19_13:                              ;   in Loop: Header=BB19_14 Depth=1
	s_or_b32 exec_lo, exec_lo, s9
	s_add_u32 s2, s2, 2
	s_addc_u32 s3, s3, 0
	v_add_co_u32 v3, vcc_lo, v3, 50
	v_cmp_ge_i64_e64 s9, s[2:3], s[6:7]
	v_add_co_ci_u32_e32 v4, vcc_lo, 0, v4, vcc_lo
	v_add_co_u32 v5, vcc_lo, v5, 8
	v_add_co_ci_u32_e32 v6, vcc_lo, 0, v6, vcc_lo
	s_delay_alu instid0(VALU_DEP_4)
	s_and_b32 vcc_lo, exec_lo, s9
	s_cbranch_vccnz .LBB19_16
.LBB19_14:                              ; =>This Inner Loop Header: Depth=1
	v_add_co_u32 v9, s9, v8, s2
	s_delay_alu instid0(VALU_DEP_1) | instskip(SKIP_1) | instid1(VALU_DEP_1)
	v_add_co_ci_u32_e64 v10, null, 0, s3, s9
	s_mov_b32 s9, exec_lo
	v_cmpx_gt_i64_e64 s[6:7], v[9:10]
	s_cbranch_execz .LBB19_13
; %bb.15:                               ;   in Loop: Header=BB19_14 Depth=1
	global_load_b32 v9, v[5:6], off
	s_waitcnt vmcnt(0)
	v_subrev_nc_u32_e32 v11, s10, v9
	s_delay_alu instid0(VALU_DEP_1) | instskip(NEXT) | instid1(VALU_DEP_1)
	v_mad_u64_u32 v[9:10], null, v11, 5, v[2:3]
	v_ashrrev_i32_e32 v10, 31, v9
	v_add_co_u32 v9, vcc_lo, s0, v9
	s_delay_alu instid0(VALU_DEP_2)
	v_add_co_ci_u32_e32 v10, vcc_lo, s1, v10, vcc_lo
	global_load_i8 v11, v[3:4], off
	global_load_i8 v9, v[9:10], off
	s_waitcnt vmcnt(0)
	v_mad_i32_i24 v1, v9, v11, v1
	s_branch .LBB19_13
.LBB19_16:
	s_set_inst_prefetch_distance 0x2
	v_lshlrev_b32_e32 v2, 2, v0
	s_and_b32 vcc_lo, exec_lo, s15
	ds_store_b32 v2, v1
	s_waitcnt lgkmcnt(0)
	buffer_gl0_inv
	s_cbranch_vccz .LBB19_26
; %bb.17:
	s_mov_b32 s0, exec_lo
	v_cmpx_gt_u32_e32 25, v0
	s_cbranch_execz .LBB19_19
; %bb.18:
	ds_load_2addr_b32 v[3:4], v2 offset1:25
	s_waitcnt lgkmcnt(0)
	v_add_nc_u32_e32 v3, v3, v4
	ds_store_b32 v2, v3
.LBB19_19:
	s_or_b32 exec_lo, exec_lo, s0
	s_delay_alu instid0(SALU_CYCLE_1)
	s_mov_b32 s0, exec_lo
	s_waitcnt lgkmcnt(0)
	buffer_gl0_inv
	v_cmpx_eq_u16_e32 0, v7
	s_cbranch_execz .LBB19_21
; %bb.20:
	ds_load_2addr_b32 v[3:4], v2 offset1:4
	s_waitcnt lgkmcnt(0)
	v_add_nc_u32_e32 v3, v3, v4
	ds_store_b32 v2, v3
.LBB19_21:
	s_or_b32 exec_lo, exec_lo, s0
	s_delay_alu instid0(SALU_CYCLE_1)
	s_mov_b32 s0, exec_lo
	s_waitcnt lgkmcnt(0)
	buffer_gl0_inv
	v_cmpx_gt_u16_e32 2, v7
	s_cbranch_execz .LBB19_23
; %bb.22:
	ds_load_2addr_b32 v[3:4], v2 offset1:2
	s_waitcnt lgkmcnt(0)
	v_add_nc_u32_e32 v3, v3, v4
	ds_store_b32 v2, v3
.LBB19_23:
	s_or_b32 exec_lo, exec_lo, s0
	s_mov_b32 s0, 0
	s_mov_b32 s1, 0
	s_mov_b32 s2, exec_lo
	s_waitcnt lgkmcnt(0)
	buffer_gl0_inv
                                        ; implicit-def: $vgpr3
                                        ; implicit-def: $vgpr4
	v_cmpx_gt_u32_e32 5, v0
	s_xor_b32 s2, exec_lo, s2
; %bb.24:
	v_mul_u32_u24_e32 v4, 5, v0
	v_mad_u32_u24 v3, v0, 5, 1
	s_mov_b32 s1, exec_lo
	s_delay_alu instid0(VALU_DEP_2)
	v_lshlrev_b32_e32 v4, 2, v4
; %bb.25:
	s_or_b32 exec_lo, exec_lo, s2
	s_delay_alu instid0(SALU_CYCLE_1)
	s_and_b32 vcc_lo, exec_lo, s0
	s_cbranch_vccnz .LBB19_27
	s_branch .LBB19_36
.LBB19_26:
	s_mov_b32 s1, 0
                                        ; implicit-def: $vgpr3
                                        ; implicit-def: $vgpr4
	s_cbranch_execz .LBB19_36
.LBB19_27:
	v_cmp_gt_u32_e32 vcc_lo, 10, v0
	s_and_saveexec_b32 s0, vcc_lo
	s_cbranch_execz .LBB19_29
; %bb.28:
	ds_load_2addr_b32 v[3:4], v2 offset1:40
	s_waitcnt lgkmcnt(0)
	v_add_nc_u32_e32 v3, v3, v4
	ds_store_b32 v2, v3
.LBB19_29:
	s_or_b32 exec_lo, exec_lo, s0
	s_delay_alu instid0(SALU_CYCLE_1)
	s_mov_b32 s2, exec_lo
	s_waitcnt lgkmcnt(0)
	buffer_gl0_inv
	v_cmpx_gt_u32_e32 20, v0
	s_cbranch_execz .LBB19_31
; %bb.30:
	ds_load_2addr_b32 v[3:4], v2 offset1:20
	s_waitcnt lgkmcnt(0)
	v_add_nc_u32_e32 v3, v3, v4
	ds_store_b32 v2, v3
.LBB19_31:
	s_or_b32 exec_lo, exec_lo, s2
	s_waitcnt lgkmcnt(0)
	buffer_gl0_inv
	s_and_saveexec_b32 s0, vcc_lo
	s_cbranch_execz .LBB19_33
; %bb.32:
	ds_load_2addr_b32 v[3:4], v2 offset1:10
	s_waitcnt lgkmcnt(0)
	v_add_nc_u32_e32 v3, v3, v4
	ds_store_b32 v2, v3
.LBB19_33:
	s_or_b32 exec_lo, exec_lo, s0
	s_delay_alu instid0(SALU_CYCLE_1)
	s_mov_b32 s0, exec_lo
	s_waitcnt lgkmcnt(0)
	buffer_gl0_inv
                                        ; implicit-def: $vgpr3
	v_cmpx_gt_u32_e32 5, v0
; %bb.34:
	v_add_nc_u32_e32 v3, 5, v0
	s_or_b32 s1, s1, exec_lo
; %bb.35:
	s_or_b32 exec_lo, exec_lo, s0
	v_mov_b32_e32 v4, v2
.LBB19_36:
	s_and_saveexec_b32 s0, s1
	s_cbranch_execz .LBB19_38
; %bb.37:
	v_lshlrev_b32_e32 v1, 2, v3
	ds_load_b32 v2, v4
	ds_load_b32 v1, v1
	s_waitcnt lgkmcnt(0)
	v_add_nc_u32_e32 v1, v1, v2
.LBB19_38:
	s_or_b32 exec_lo, exec_lo, s0
	s_delay_alu instid0(SALU_CYCLE_1)
	s_mov_b32 s0, exec_lo
	v_cmpx_gt_u32_e32 5, v0
	s_cbranch_execz .LBB19_42
; %bb.39:
	v_mul_lo_u32 v1, v1, s11
	s_cmp_eq_u32 s14, 0
	s_mov_b32 s0, 0
	s_cbranch_scc1 .LBB19_43
; %bb.40:
	s_delay_alu instid0(VALU_DEP_1) | instskip(SKIP_1) | instid1(VALU_DEP_1)
	v_mad_u64_u32 v[2:3], null, s8, 5, v[0:1]
	v_mov_b32_e32 v3, 0
	v_lshlrev_b64 v[2:3], 2, v[2:3]
	s_delay_alu instid0(VALU_DEP_1) | instskip(NEXT) | instid1(VALU_DEP_2)
	v_add_co_u32 v2, vcc_lo, s4, v2
	v_add_co_ci_u32_e32 v3, vcc_lo, s5, v3, vcc_lo
	global_load_b32 v6, v[2:3], off
	s_waitcnt vmcnt(0)
	v_mad_u64_u32 v[4:5], null, v6, s14, v[1:2]
	global_store_b32 v[2:3], v4, off
	s_and_not1_b32 vcc_lo, exec_lo, s0
	s_cbranch_vccnz .LBB19_42
.LBB19_41:
	s_delay_alu instid0(VALU_DEP_1) | instskip(SKIP_1) | instid1(VALU_DEP_1)
	v_mad_u64_u32 v[2:3], null, s8, 5, v[0:1]
	v_mov_b32_e32 v3, 0
	v_lshlrev_b64 v[2:3], 2, v[2:3]
	s_delay_alu instid0(VALU_DEP_1) | instskip(NEXT) | instid1(VALU_DEP_2)
	v_add_co_u32 v2, vcc_lo, s4, v2
	v_add_co_ci_u32_e32 v3, vcc_lo, s5, v3, vcc_lo
	global_store_b32 v[2:3], v1, off
.LBB19_42:
	s_nop 0
	s_sendmsg sendmsg(MSG_DEALLOC_VGPRS)
	s_endpgm
.LBB19_43:
	s_branch .LBB19_41
	.section	.rodata,"a",@progbits
	.p2align	6, 0x0
	.amdhsa_kernel _ZN9rocsparseL18bsrxmvn_5x5_kernelILj50EiliaaiEEvT2_20rocsparse_direction_NS_24const_host_device_scalarIT0_EES1_PKS1_PKT1_SA_S7_PKT3_PKT4_S5_PT5_21rocsparse_index_base_b
		.amdhsa_group_segment_fixed_size 200
		.amdhsa_private_segment_fixed_size 0
		.amdhsa_kernarg_size 96
		.amdhsa_user_sgpr_count 15
		.amdhsa_user_sgpr_dispatch_ptr 0
		.amdhsa_user_sgpr_queue_ptr 0
		.amdhsa_user_sgpr_kernarg_segment_ptr 1
		.amdhsa_user_sgpr_dispatch_id 0
		.amdhsa_user_sgpr_private_segment_size 0
		.amdhsa_wavefront_size32 1
		.amdhsa_uses_dynamic_stack 0
		.amdhsa_enable_private_segment 0
		.amdhsa_system_sgpr_workgroup_id_x 1
		.amdhsa_system_sgpr_workgroup_id_y 0
		.amdhsa_system_sgpr_workgroup_id_z 0
		.amdhsa_system_sgpr_workgroup_info 0
		.amdhsa_system_vgpr_workitem_id 0
		.amdhsa_next_free_vgpr 12
		.amdhsa_next_free_sgpr 21
		.amdhsa_reserve_vcc 1
		.amdhsa_float_round_mode_32 0
		.amdhsa_float_round_mode_16_64 0
		.amdhsa_float_denorm_mode_32 3
		.amdhsa_float_denorm_mode_16_64 3
		.amdhsa_dx10_clamp 1
		.amdhsa_ieee_mode 1
		.amdhsa_fp16_overflow 0
		.amdhsa_workgroup_processor_mode 1
		.amdhsa_memory_ordered 1
		.amdhsa_forward_progress 0
		.amdhsa_shared_vgpr_count 0
		.amdhsa_exception_fp_ieee_invalid_op 0
		.amdhsa_exception_fp_denorm_src 0
		.amdhsa_exception_fp_ieee_div_zero 0
		.amdhsa_exception_fp_ieee_overflow 0
		.amdhsa_exception_fp_ieee_underflow 0
		.amdhsa_exception_fp_ieee_inexact 0
		.amdhsa_exception_int_div_zero 0
	.end_amdhsa_kernel
	.section	.text._ZN9rocsparseL18bsrxmvn_5x5_kernelILj50EiliaaiEEvT2_20rocsparse_direction_NS_24const_host_device_scalarIT0_EES1_PKS1_PKT1_SA_S7_PKT3_PKT4_S5_PT5_21rocsparse_index_base_b,"axG",@progbits,_ZN9rocsparseL18bsrxmvn_5x5_kernelILj50EiliaaiEEvT2_20rocsparse_direction_NS_24const_host_device_scalarIT0_EES1_PKS1_PKT1_SA_S7_PKT3_PKT4_S5_PT5_21rocsparse_index_base_b,comdat
.Lfunc_end19:
	.size	_ZN9rocsparseL18bsrxmvn_5x5_kernelILj50EiliaaiEEvT2_20rocsparse_direction_NS_24const_host_device_scalarIT0_EES1_PKS1_PKT1_SA_S7_PKT3_PKT4_S5_PT5_21rocsparse_index_base_b, .Lfunc_end19-_ZN9rocsparseL18bsrxmvn_5x5_kernelILj50EiliaaiEEvT2_20rocsparse_direction_NS_24const_host_device_scalarIT0_EES1_PKS1_PKT1_SA_S7_PKT3_PKT4_S5_PT5_21rocsparse_index_base_b
                                        ; -- End function
	.section	.AMDGPU.csdata,"",@progbits
; Kernel info:
; codeLenInByte = 1512
; NumSgprs: 23
; NumVgprs: 12
; ScratchSize: 0
; MemoryBound: 0
; FloatMode: 240
; IeeeMode: 1
; LDSByteSize: 200 bytes/workgroup (compile time only)
; SGPRBlocks: 2
; VGPRBlocks: 1
; NumSGPRsForWavesPerEU: 23
; NumVGPRsForWavesPerEU: 12
; Occupancy: 16
; WaveLimiterHint : 1
; COMPUTE_PGM_RSRC2:SCRATCH_EN: 0
; COMPUTE_PGM_RSRC2:USER_SGPR: 15
; COMPUTE_PGM_RSRC2:TRAP_HANDLER: 0
; COMPUTE_PGM_RSRC2:TGID_X_EN: 1
; COMPUTE_PGM_RSRC2:TGID_Y_EN: 0
; COMPUTE_PGM_RSRC2:TGID_Z_EN: 0
; COMPUTE_PGM_RSRC2:TIDIG_COMP_CNT: 0
	.section	.text._ZN9rocsparseL18bsrxmvn_5x5_kernelILj50EillaaiEEvT2_20rocsparse_direction_NS_24const_host_device_scalarIT0_EES1_PKS1_PKT1_SA_S7_PKT3_PKT4_S5_PT5_21rocsparse_index_base_b,"axG",@progbits,_ZN9rocsparseL18bsrxmvn_5x5_kernelILj50EillaaiEEvT2_20rocsparse_direction_NS_24const_host_device_scalarIT0_EES1_PKS1_PKT1_SA_S7_PKT3_PKT4_S5_PT5_21rocsparse_index_base_b,comdat
	.globl	_ZN9rocsparseL18bsrxmvn_5x5_kernelILj50EillaaiEEvT2_20rocsparse_direction_NS_24const_host_device_scalarIT0_EES1_PKS1_PKT1_SA_S7_PKT3_PKT4_S5_PT5_21rocsparse_index_base_b ; -- Begin function _ZN9rocsparseL18bsrxmvn_5x5_kernelILj50EillaaiEEvT2_20rocsparse_direction_NS_24const_host_device_scalarIT0_EES1_PKS1_PKT1_SA_S7_PKT3_PKT4_S5_PT5_21rocsparse_index_base_b
	.p2align	8
	.type	_ZN9rocsparseL18bsrxmvn_5x5_kernelILj50EillaaiEEvT2_20rocsparse_direction_NS_24const_host_device_scalarIT0_EES1_PKS1_PKT1_SA_S7_PKT3_PKT4_S5_PT5_21rocsparse_index_base_b,@function
_ZN9rocsparseL18bsrxmvn_5x5_kernelILj50EillaaiEEvT2_20rocsparse_direction_NS_24const_host_device_scalarIT0_EES1_PKS1_PKT1_SA_S7_PKT3_PKT4_S5_PT5_21rocsparse_index_base_b: ; @_ZN9rocsparseL18bsrxmvn_5x5_kernelILj50EillaaiEEvT2_20rocsparse_direction_NS_24const_host_device_scalarIT0_EES1_PKS1_PKT1_SA_S7_PKT3_PKT4_S5_PT5_21rocsparse_index_base_b
; %bb.0:
	s_clause 0x1
	s_load_b64 s[10:11], s[0:1], 0x60
	s_load_b64 s[4:5], s[0:1], 0x10
	s_mov_b32 s8, s15
	s_mov_b32 s7, -1
	s_waitcnt lgkmcnt(0)
	s_bitcmp1_b32 s11, 0
                                        ; implicit-def: $sgpr11
	s_cselect_b32 s2, -1, 0
	s_delay_alu instid0(SALU_CYCLE_1) | instskip(NEXT) | instid1(SALU_CYCLE_1)
	s_xor_b32 s6, s2, -1
	s_and_b32 vcc_lo, exec_lo, s6
	s_cbranch_vccnz .LBB20_4
; %bb.1:
	s_load_b64 s[2:3], s[0:1], 0x50
	s_and_not1_b32 vcc_lo, exec_lo, s7
	s_cbranch_vccz .LBB20_5
.LBB20_2:
	s_and_b32 vcc_lo, exec_lo, s6
	s_cbranch_vccz .LBB20_6
.LBB20_3:
	s_waitcnt lgkmcnt(0)
	s_load_b32 s14, s[2:3], 0x0
	s_cbranch_execz .LBB20_7
	s_branch .LBB20_8
.LBB20_4:
	s_load_b32 s11, s[4:5], 0x0
	s_load_b64 s[2:3], s[0:1], 0x50
	s_cbranch_execnz .LBB20_2
.LBB20_5:
	s_waitcnt lgkmcnt(0)
	s_mov_b32 s11, s4
	s_and_b32 vcc_lo, exec_lo, s6
	s_cbranch_vccnz .LBB20_3
.LBB20_6:
	s_waitcnt lgkmcnt(0)
                                        ; implicit-def: $sgpr14
.LBB20_7:
	s_waitcnt lgkmcnt(0)
	s_mov_b32 s14, s2
.LBB20_8:
	s_cmp_lg_u32 s11, 0
	s_mov_b32 s9, 0
	s_cselect_b32 s2, -1, 0
	s_waitcnt lgkmcnt(0)
	s_cmp_lg_u32 s14, 1
	s_cselect_b32 s3, -1, 0
	s_delay_alu instid0(SALU_CYCLE_1) | instskip(NEXT) | instid1(SALU_CYCLE_1)
	s_or_b32 s2, s2, s3
	s_and_not1_b32 vcc_lo, exec_lo, s2
	s_cbranch_vccnz .LBB20_45
; %bb.9:
	s_clause 0x1
	s_load_b128 s[4:7], s[0:1], 0x20
	s_load_b64 s[12:13], s[0:1], 0x30
	s_waitcnt lgkmcnt(0)
	s_cmp_eq_u64 s[4:5], 0
	s_cbranch_scc1 .LBB20_11
; %bb.10:
	s_lshl_b64 s[2:3], s[8:9], 3
	s_delay_alu instid0(SALU_CYCLE_1)
	s_add_u32 s2, s4, s2
	s_addc_u32 s3, s5, s3
	s_load_b64 s[2:3], s[2:3], 0x0
	s_waitcnt lgkmcnt(0)
	s_sub_u32 s8, s2, s10
	s_subb_u32 s9, s3, 0
.LBB20_11:
	s_load_b32 s3, s[0:1], 0x8
	v_mul_u32_u24_e32 v1, 0x3334, v0
	s_delay_alu instid0(VALU_DEP_1) | instskip(NEXT) | instid1(VALU_DEP_1)
	v_lshrrev_b32_e32 v2, 16, v1
	v_mul_lo_u16 v3, v2, 5
	s_waitcnt lgkmcnt(0)
	s_cmp_eq_u32 s3, 1
	s_cselect_b32 s2, -1, 0
	s_cmp_lg_u32 s3, 1
	s_cselect_b32 s15, -1, 0
	s_lshl_b64 s[4:5], s[8:9], 3
	s_delay_alu instid0(SALU_CYCLE_1)
	s_add_u32 s6, s6, s4
	s_addc_u32 s7, s7, s5
	s_add_u32 s3, s6, 8
	s_addc_u32 s16, s7, 0
	;; [unrolled: 2-line block ×3, first 2 shown]
	s_cmp_eq_u64 s[12:13], 0
	s_cselect_b32 s5, s16, s5
	s_cselect_b32 s4, s3, s4
	s_load_b64 s[6:7], s[6:7], 0x0
	s_load_b64 s[12:13], s[4:5], 0x0
	s_waitcnt lgkmcnt(0)
	v_cmp_lt_i64_e64 s3, s[6:7], s[12:13]
	s_delay_alu instid0(VALU_DEP_1)
	s_and_b32 vcc_lo, exec_lo, s3
	s_cbranch_vccnz .LBB20_13
; %bb.12:
	v_mov_b32_e32 v1, 0
	s_mov_b32 s3, 0
	s_branch .LBB20_14
.LBB20_13:
	s_mov_b32 s3, -1
.LBB20_14:
	s_load_b64 s[4:5], s[0:1], 0x58
	v_cndmask_b32_e64 v4, 0, 1, s3
	v_sub_nc_u16 v9, v0, v3
	v_mov_b32_e32 v8, s3
	s_delay_alu instid0(VALU_DEP_3)
	v_cmp_ne_u32_e32 vcc_lo, 1, v4
	s_cbranch_vccnz .LBB20_19
; %bb.15:
	v_mul_lo_u16 v3, v2, 52
	v_dual_mov_b32 v1, 0 :: v_dual_and_b32 v6, 0xffff, v0
	s_clause 0x1
	s_load_b64 s[20:21], s[0:1], 0x48
	s_load_b128 s[16:19], s[0:1], 0x38
	s_mul_i32 s3, s10, 25
	v_lshrrev_b16 v3, 8, v3
	v_mad_u64_u32 v[4:5], null, s6, 25, v[0:1]
	v_mul_u32_u24_e32 v6, 0xa3e, v6
	v_and_b32_e32 v7, 0xffff, v9
	s_delay_alu instid0(VALU_DEP_4) | instskip(SKIP_3) | instid1(VALU_DEP_2)
	v_mul_lo_u16 v3, v3, 5
	s_mul_hi_u32 s1, s10, 25
	s_sub_u32 s0, s12, s10
	v_lshrrev_b32_e32 v10, 16, v6
	v_sub_nc_u16 v3, v2, v3
	s_delay_alu instid0(VALU_DEP_1) | instskip(NEXT) | instid1(VALU_DEP_1)
	v_dual_mov_b32 v2, v5 :: v_dual_and_b32 v3, 0xff, v3
	v_mad_u64_u32 v[5:6], null, s7, 25, v[2:3]
	s_delay_alu instid0(VALU_DEP_1) | instskip(SKIP_2) | instid1(VALU_DEP_1)
	v_mov_b32_e32 v8, v5
	v_cndmask_b32_e64 v2, v7, v3, s2
	v_add_co_u32 v6, s2, s6, v10
	v_add_co_ci_u32_e64 v7, null, s7, 0, s2
	s_waitcnt lgkmcnt(0)
	s_delay_alu instid0(VALU_DEP_3) | instskip(NEXT) | instid1(VALU_DEP_3)
	v_add_co_u32 v2, s2, s20, v2
	v_sub_co_u32 v5, vcc_lo, v6, s10
	s_delay_alu instid0(VALU_DEP_3) | instskip(SKIP_2) | instid1(VALU_DEP_3)
	v_subrev_co_ci_u32_e32 v6, vcc_lo, 0, v7, vcc_lo
	v_sub_co_u32 v4, vcc_lo, v4, s3
	v_subrev_co_ci_u32_e32 v8, vcc_lo, s1, v8, vcc_lo
	v_lshlrev_b64 v[6:7], 3, v[5:6]
	s_delay_alu instid0(VALU_DEP_3) | instskip(NEXT) | instid1(VALU_DEP_3)
	v_add_co_u32 v4, vcc_lo, s18, v4
	v_add_co_ci_u32_e32 v5, vcc_lo, s19, v8, vcc_lo
	v_add_co_ci_u32_e64 v3, null, s21, 0, s2
	s_delay_alu instid0(VALU_DEP_4)
	v_add_co_u32 v6, vcc_lo, s16, v6
	v_add_co_ci_u32_e32 v7, vcc_lo, s17, v7, vcc_lo
	v_mov_b32_e32 v8, v1
	s_subb_u32 s1, s13, 0
	s_sub_u32 s2, s6, s10
	s_subb_u32 s3, s7, 0
	s_set_inst_prefetch_distance 0x1
	s_branch .LBB20_17
	.p2align	6
.LBB20_16:                              ;   in Loop: Header=BB20_17 Depth=1
	s_or_b32 exec_lo, exec_lo, s6
	s_add_u32 s2, s2, 2
	s_addc_u32 s3, s3, 0
	v_add_co_u32 v4, vcc_lo, v4, 50
	v_cmp_ge_i64_e64 s6, s[2:3], s[0:1]
	v_add_co_ci_u32_e32 v5, vcc_lo, 0, v5, vcc_lo
	v_add_co_u32 v6, vcc_lo, v6, 16
	v_add_co_ci_u32_e32 v7, vcc_lo, 0, v7, vcc_lo
	s_delay_alu instid0(VALU_DEP_4)
	s_and_b32 vcc_lo, exec_lo, s6
	s_cbranch_vccnz .LBB20_19
.LBB20_17:                              ; =>This Inner Loop Header: Depth=1
	v_add_co_u32 v11, s6, v10, s2
	s_delay_alu instid0(VALU_DEP_1) | instskip(SKIP_1) | instid1(VALU_DEP_1)
	v_add_co_ci_u32_e64 v12, null, 0, s3, s6
	s_mov_b32 s6, exec_lo
	v_cmpx_gt_i64_e64 s[0:1], v[11:12]
	s_cbranch_execz .LBB20_16
; %bb.18:                               ;   in Loop: Header=BB20_17 Depth=1
	global_load_b64 v[11:12], v[6:7], off
	s_waitcnt vmcnt(0)
	v_sub_co_u32 v13, vcc_lo, v11, s10
	v_subrev_co_ci_u32_e32 v15, vcc_lo, 0, v12, vcc_lo
	s_delay_alu instid0(VALU_DEP_2) | instskip(NEXT) | instid1(VALU_DEP_1)
	v_mad_u64_u32 v[11:12], null, v13, 5, v[2:3]
	v_mad_u64_u32 v[13:14], null, v15, 5, v[12:13]
	s_delay_alu instid0(VALU_DEP_1)
	v_mov_b32_e32 v12, v13
	global_load_i8 v13, v[4:5], off
	global_load_i8 v11, v[11:12], off
	s_waitcnt vmcnt(0)
	v_mad_i32_i24 v8, v11, v13, v8
	s_branch .LBB20_16
.LBB20_19:
	s_set_inst_prefetch_distance 0x2
	v_lshlrev_b32_e32 v2, 2, v0
	s_and_b32 vcc_lo, exec_lo, s15
	ds_store_b32 v2, v8
	s_waitcnt lgkmcnt(0)
	buffer_gl0_inv
	s_cbranch_vccz .LBB20_29
; %bb.20:
	s_mov_b32 s0, exec_lo
	v_cmpx_gt_u32_e32 25, v0
	s_cbranch_execz .LBB20_22
; %bb.21:
	ds_load_2addr_b32 v[3:4], v2 offset1:25
	s_waitcnt lgkmcnt(0)
	v_add_nc_u32_e32 v3, v3, v4
	ds_store_b32 v2, v3
.LBB20_22:
	s_or_b32 exec_lo, exec_lo, s0
	s_delay_alu instid0(SALU_CYCLE_1)
	s_mov_b32 s0, exec_lo
	s_waitcnt lgkmcnt(0)
	buffer_gl0_inv
	v_cmpx_eq_u16_e32 0, v9
	s_cbranch_execz .LBB20_24
; %bb.23:
	ds_load_2addr_b32 v[3:4], v2 offset1:4
	s_waitcnt lgkmcnt(0)
	v_add_nc_u32_e32 v3, v3, v4
	ds_store_b32 v2, v3
.LBB20_24:
	s_or_b32 exec_lo, exec_lo, s0
	s_delay_alu instid0(SALU_CYCLE_1)
	s_mov_b32 s0, exec_lo
	s_waitcnt lgkmcnt(0)
	buffer_gl0_inv
	v_cmpx_gt_u16_e32 2, v9
	s_cbranch_execz .LBB20_26
; %bb.25:
	ds_load_2addr_b32 v[3:4], v2 offset1:2
	s_waitcnt lgkmcnt(0)
	v_add_nc_u32_e32 v3, v3, v4
	ds_store_b32 v2, v3
.LBB20_26:
	s_or_b32 exec_lo, exec_lo, s0
	s_mov_b32 s0, 0
	s_mov_b32 s1, 0
	s_mov_b32 s2, exec_lo
	s_waitcnt lgkmcnt(0)
	buffer_gl0_inv
                                        ; implicit-def: $vgpr3
                                        ; implicit-def: $vgpr4
	v_cmpx_gt_u32_e32 5, v0
	s_xor_b32 s2, exec_lo, s2
; %bb.27:
	v_mul_u32_u24_e32 v4, 5, v0
	v_mad_u32_u24 v3, v0, 5, 1
	s_mov_b32 s1, exec_lo
	s_delay_alu instid0(VALU_DEP_2)
	v_lshlrev_b32_e32 v4, 2, v4
; %bb.28:
	s_or_b32 exec_lo, exec_lo, s2
	s_delay_alu instid0(SALU_CYCLE_1)
	s_and_b32 vcc_lo, exec_lo, s0
	s_cbranch_vccnz .LBB20_30
	s_branch .LBB20_39
.LBB20_29:
	s_mov_b32 s1, 0
                                        ; implicit-def: $vgpr3
                                        ; implicit-def: $vgpr4
	s_cbranch_execz .LBB20_39
.LBB20_30:
	v_cmp_gt_u32_e32 vcc_lo, 10, v0
	s_and_saveexec_b32 s0, vcc_lo
	s_cbranch_execz .LBB20_32
; %bb.31:
	ds_load_2addr_b32 v[3:4], v2 offset1:40
	s_waitcnt lgkmcnt(0)
	v_add_nc_u32_e32 v3, v3, v4
	ds_store_b32 v2, v3
.LBB20_32:
	s_or_b32 exec_lo, exec_lo, s0
	s_delay_alu instid0(SALU_CYCLE_1)
	s_mov_b32 s2, exec_lo
	s_waitcnt lgkmcnt(0)
	buffer_gl0_inv
	v_cmpx_gt_u32_e32 20, v0
	s_cbranch_execz .LBB20_34
; %bb.33:
	ds_load_2addr_b32 v[3:4], v2 offset1:20
	s_waitcnt lgkmcnt(0)
	v_add_nc_u32_e32 v3, v3, v4
	ds_store_b32 v2, v3
.LBB20_34:
	s_or_b32 exec_lo, exec_lo, s2
	s_waitcnt lgkmcnt(0)
	buffer_gl0_inv
	s_and_saveexec_b32 s0, vcc_lo
	s_cbranch_execz .LBB20_36
; %bb.35:
	ds_load_2addr_b32 v[3:4], v2 offset1:10
	s_waitcnt lgkmcnt(0)
	v_add_nc_u32_e32 v3, v3, v4
	ds_store_b32 v2, v3
.LBB20_36:
	s_or_b32 exec_lo, exec_lo, s0
	s_delay_alu instid0(SALU_CYCLE_1)
	s_mov_b32 s0, exec_lo
	s_waitcnt lgkmcnt(0)
	buffer_gl0_inv
                                        ; implicit-def: $vgpr3
	v_cmpx_gt_u32_e32 5, v0
; %bb.37:
	v_add_nc_u32_e32 v3, 5, v0
	s_or_b32 s1, s1, exec_lo
                                        ; implicit-def: $vgpr8
; %bb.38:
	s_or_b32 exec_lo, exec_lo, s0
	v_mov_b32_e32 v4, v2
.LBB20_39:
	s_and_saveexec_b32 s0, s1
	s_cbranch_execz .LBB20_41
; %bb.40:
	v_lshlrev_b32_e32 v2, 2, v3
	ds_load_b32 v3, v4
	ds_load_b32 v2, v2
	s_waitcnt lgkmcnt(0)
	v_add_nc_u32_e32 v8, v2, v3
.LBB20_41:
	s_or_b32 exec_lo, exec_lo, s0
	s_delay_alu instid0(SALU_CYCLE_1)
	s_mov_b32 s0, exec_lo
	v_cmpx_gt_u32_e32 5, v0
	s_cbranch_execz .LBB20_45
; %bb.42:
	v_mul_lo_u32 v2, v8, s11
	v_lshlrev_b64 v[0:1], 2, v[0:1]
	s_mov_b32 s0, 0
	s_cmp_eq_u32 s14, 0
	s_mul_i32 s1, s9, 20
	s_mul_hi_u32 s2, s8, 20
	s_mul_i32 s3, s8, 20
	s_cbranch_scc1 .LBB20_46
; %bb.43:
	s_add_i32 s6, s2, s1
	s_add_u32 s7, s4, s3
	s_addc_u32 s6, s5, s6
	v_add_co_u32 v3, vcc_lo, s7, v0
	v_add_co_ci_u32_e32 v4, vcc_lo, s6, v1, vcc_lo
	global_load_b32 v7, v[3:4], off
	s_waitcnt vmcnt(0)
	v_mad_u64_u32 v[5:6], null, v7, s14, v[2:3]
	global_store_b32 v[3:4], v5, off
	s_and_not1_b32 vcc_lo, exec_lo, s0
	s_cbranch_vccnz .LBB20_45
.LBB20_44:
	s_add_i32 s2, s2, s1
	s_add_u32 s0, s4, s3
	s_addc_u32 s1, s5, s2
	v_add_co_u32 v0, vcc_lo, s0, v0
	v_add_co_ci_u32_e32 v1, vcc_lo, s1, v1, vcc_lo
	global_store_b32 v[0:1], v2, off
.LBB20_45:
	s_nop 0
	s_sendmsg sendmsg(MSG_DEALLOC_VGPRS)
	s_endpgm
.LBB20_46:
	s_branch .LBB20_44
	.section	.rodata,"a",@progbits
	.p2align	6, 0x0
	.amdhsa_kernel _ZN9rocsparseL18bsrxmvn_5x5_kernelILj50EillaaiEEvT2_20rocsparse_direction_NS_24const_host_device_scalarIT0_EES1_PKS1_PKT1_SA_S7_PKT3_PKT4_S5_PT5_21rocsparse_index_base_b
		.amdhsa_group_segment_fixed_size 200
		.amdhsa_private_segment_fixed_size 0
		.amdhsa_kernarg_size 104
		.amdhsa_user_sgpr_count 15
		.amdhsa_user_sgpr_dispatch_ptr 0
		.amdhsa_user_sgpr_queue_ptr 0
		.amdhsa_user_sgpr_kernarg_segment_ptr 1
		.amdhsa_user_sgpr_dispatch_id 0
		.amdhsa_user_sgpr_private_segment_size 0
		.amdhsa_wavefront_size32 1
		.amdhsa_uses_dynamic_stack 0
		.amdhsa_enable_private_segment 0
		.amdhsa_system_sgpr_workgroup_id_x 1
		.amdhsa_system_sgpr_workgroup_id_y 0
		.amdhsa_system_sgpr_workgroup_id_z 0
		.amdhsa_system_sgpr_workgroup_info 0
		.amdhsa_system_vgpr_workitem_id 0
		.amdhsa_next_free_vgpr 16
		.amdhsa_next_free_sgpr 22
		.amdhsa_reserve_vcc 1
		.amdhsa_float_round_mode_32 0
		.amdhsa_float_round_mode_16_64 0
		.amdhsa_float_denorm_mode_32 3
		.amdhsa_float_denorm_mode_16_64 3
		.amdhsa_dx10_clamp 1
		.amdhsa_ieee_mode 1
		.amdhsa_fp16_overflow 0
		.amdhsa_workgroup_processor_mode 1
		.amdhsa_memory_ordered 1
		.amdhsa_forward_progress 0
		.amdhsa_shared_vgpr_count 0
		.amdhsa_exception_fp_ieee_invalid_op 0
		.amdhsa_exception_fp_denorm_src 0
		.amdhsa_exception_fp_ieee_div_zero 0
		.amdhsa_exception_fp_ieee_overflow 0
		.amdhsa_exception_fp_ieee_underflow 0
		.amdhsa_exception_fp_ieee_inexact 0
		.amdhsa_exception_int_div_zero 0
	.end_amdhsa_kernel
	.section	.text._ZN9rocsparseL18bsrxmvn_5x5_kernelILj50EillaaiEEvT2_20rocsparse_direction_NS_24const_host_device_scalarIT0_EES1_PKS1_PKT1_SA_S7_PKT3_PKT4_S5_PT5_21rocsparse_index_base_b,"axG",@progbits,_ZN9rocsparseL18bsrxmvn_5x5_kernelILj50EillaaiEEvT2_20rocsparse_direction_NS_24const_host_device_scalarIT0_EES1_PKS1_PKT1_SA_S7_PKT3_PKT4_S5_PT5_21rocsparse_index_base_b,comdat
.Lfunc_end20:
	.size	_ZN9rocsparseL18bsrxmvn_5x5_kernelILj50EillaaiEEvT2_20rocsparse_direction_NS_24const_host_device_scalarIT0_EES1_PKS1_PKT1_SA_S7_PKT3_PKT4_S5_PT5_21rocsparse_index_base_b, .Lfunc_end20-_ZN9rocsparseL18bsrxmvn_5x5_kernelILj50EillaaiEEvT2_20rocsparse_direction_NS_24const_host_device_scalarIT0_EES1_PKS1_PKT1_SA_S7_PKT3_PKT4_S5_PT5_21rocsparse_index_base_b
                                        ; -- End function
	.section	.AMDGPU.csdata,"",@progbits
; Kernel info:
; codeLenInByte = 1564
; NumSgprs: 24
; NumVgprs: 16
; ScratchSize: 0
; MemoryBound: 0
; FloatMode: 240
; IeeeMode: 1
; LDSByteSize: 200 bytes/workgroup (compile time only)
; SGPRBlocks: 2
; VGPRBlocks: 1
; NumSGPRsForWavesPerEU: 24
; NumVGPRsForWavesPerEU: 16
; Occupancy: 16
; WaveLimiterHint : 1
; COMPUTE_PGM_RSRC2:SCRATCH_EN: 0
; COMPUTE_PGM_RSRC2:USER_SGPR: 15
; COMPUTE_PGM_RSRC2:TRAP_HANDLER: 0
; COMPUTE_PGM_RSRC2:TGID_X_EN: 1
; COMPUTE_PGM_RSRC2:TGID_Y_EN: 0
; COMPUTE_PGM_RSRC2:TGID_Z_EN: 0
; COMPUTE_PGM_RSRC2:TIDIG_COMP_CNT: 0
	.section	.text._ZN9rocsparseL18bsrxmvn_5x5_kernelILj50EfiiaafEEvT2_20rocsparse_direction_NS_24const_host_device_scalarIT0_EES1_PKS1_PKT1_SA_S7_PKT3_PKT4_S5_PT5_21rocsparse_index_base_b,"axG",@progbits,_ZN9rocsparseL18bsrxmvn_5x5_kernelILj50EfiiaafEEvT2_20rocsparse_direction_NS_24const_host_device_scalarIT0_EES1_PKS1_PKT1_SA_S7_PKT3_PKT4_S5_PT5_21rocsparse_index_base_b,comdat
	.globl	_ZN9rocsparseL18bsrxmvn_5x5_kernelILj50EfiiaafEEvT2_20rocsparse_direction_NS_24const_host_device_scalarIT0_EES1_PKS1_PKT1_SA_S7_PKT3_PKT4_S5_PT5_21rocsparse_index_base_b ; -- Begin function _ZN9rocsparseL18bsrxmvn_5x5_kernelILj50EfiiaafEEvT2_20rocsparse_direction_NS_24const_host_device_scalarIT0_EES1_PKS1_PKT1_SA_S7_PKT3_PKT4_S5_PT5_21rocsparse_index_base_b
	.p2align	8
	.type	_ZN9rocsparseL18bsrxmvn_5x5_kernelILj50EfiiaafEEvT2_20rocsparse_direction_NS_24const_host_device_scalarIT0_EES1_PKS1_PKT1_SA_S7_PKT3_PKT4_S5_PT5_21rocsparse_index_base_b,@function
_ZN9rocsparseL18bsrxmvn_5x5_kernelILj50EfiiaafEEvT2_20rocsparse_direction_NS_24const_host_device_scalarIT0_EES1_PKS1_PKT1_SA_S7_PKT3_PKT4_S5_PT5_21rocsparse_index_base_b: ; @_ZN9rocsparseL18bsrxmvn_5x5_kernelILj50EfiiaafEEvT2_20rocsparse_direction_NS_24const_host_device_scalarIT0_EES1_PKS1_PKT1_SA_S7_PKT3_PKT4_S5_PT5_21rocsparse_index_base_b
; %bb.0:
	s_mov_b32 s8, s15
	s_clause 0x2
	s_load_b64 s[14:15], s[0:1], 0x58
	s_load_b64 s[10:11], s[0:1], 0x8
	s_load_b64 s[2:3], s[0:1], 0x48
	s_waitcnt lgkmcnt(0)
	s_bitcmp1_b32 s15, 0
	s_cselect_b32 s4, -1, 0
	s_delay_alu instid0(SALU_CYCLE_1)
	s_and_b32 vcc_lo, exec_lo, s4
	s_xor_b32 s4, s4, -1
	s_cbranch_vccnz .LBB21_2
; %bb.1:
	s_load_b32 s10, s[10:11], 0x0
.LBB21_2:
	s_and_not1_b32 vcc_lo, exec_lo, s4
	s_cbranch_vccnz .LBB21_4
; %bb.3:
	s_load_b32 s2, s[2:3], 0x0
.LBB21_4:
	s_waitcnt lgkmcnt(0)
	v_cmp_neq_f32_e64 s3, s10, 0
	v_cmp_neq_f32_e64 s4, s2, 1.0
	s_delay_alu instid0(VALU_DEP_1) | instskip(NEXT) | instid1(SALU_CYCLE_1)
	s_or_b32 s3, s3, s4
	s_and_not1_b32 vcc_lo, exec_lo, s3
	s_cbranch_vccnz .LBB21_38
; %bb.5:
	s_clause 0x1
	s_load_b128 s[4:7], s[0:1], 0x18
	s_load_b64 s[12:13], s[0:1], 0x28
	s_waitcnt lgkmcnt(0)
	s_cmp_eq_u64 s[4:5], 0
	s_cbranch_scc1 .LBB21_7
; %bb.6:
	s_ashr_i32 s9, s8, 31
	s_delay_alu instid0(SALU_CYCLE_1) | instskip(NEXT) | instid1(SALU_CYCLE_1)
	s_lshl_b64 s[8:9], s[8:9], 2
	s_add_u32 s4, s4, s8
	s_addc_u32 s5, s5, s9
	s_load_b32 s3, s[4:5], 0x0
	s_waitcnt lgkmcnt(0)
	s_sub_i32 s8, s3, s14
.LBB21_7:
	s_load_b32 s3, s[0:1], 0x4
	v_mul_u32_u24_e32 v1, 0x3334, v0
	v_mov_b32_e32 v4, 0
	s_delay_alu instid0(VALU_DEP_2) | instskip(NEXT) | instid1(VALU_DEP_1)
	v_lshrrev_b32_e32 v1, 16, v1
	v_mul_lo_u16 v2, v1, 5
	s_delay_alu instid0(VALU_DEP_1)
	v_sub_nc_u16 v5, v0, v2
	s_waitcnt lgkmcnt(0)
	s_cmp_eq_u32 s3, 1
	s_cselect_b32 vcc_lo, -1, 0
	s_cmp_lg_u32 s3, 1
	s_cselect_b32 s3, -1, 0
	s_ashr_i32 s9, s8, 31
	s_delay_alu instid0(SALU_CYCLE_1) | instskip(NEXT) | instid1(SALU_CYCLE_1)
	s_lshl_b64 s[4:5], s[8:9], 2
	s_add_u32 s6, s6, s4
	s_addc_u32 s7, s7, s5
	s_add_u32 s9, s6, 4
	s_addc_u32 s11, s7, 0
	;; [unrolled: 2-line block ×3, first 2 shown]
	s_cmp_eq_u64 s[12:13], 0
	s_load_b64 s[12:13], s[0:1], 0x50
	s_cselect_b32 s5, s11, s5
	s_cselect_b32 s4, s9, s4
	s_load_b32 s11, s[6:7], 0x0
	s_load_b32 s9, s[4:5], 0x0
	s_waitcnt lgkmcnt(0)
	s_cmp_ge_i32 s11, s9
	s_cbranch_scc1 .LBB21_12
; %bb.8:
	v_mul_lo_u16 v2, v1, 52
	s_clause 0x1
	s_load_b128 s[4:7], s[0:1], 0x30
	s_load_b64 s[0:1], s[0:1], 0x40
	v_and_b32_e32 v3, 0xffff, v0
	s_mul_i32 s15, s14, 25
	s_sub_i32 s9, s9, s14
	v_lshrrev_b16 v2, 8, v2
	s_delay_alu instid0(VALU_DEP_1) | instskip(NEXT) | instid1(VALU_DEP_1)
	v_mul_lo_u16 v2, v2, 5
	v_sub_nc_u16 v4, v1, v2
	v_mad_u64_u32 v[1:2], null, s11, 25, v[0:1]
	v_and_b32_e32 v2, 0xffff, v5
	s_sub_i32 s11, s11, s14
	s_delay_alu instid0(VALU_DEP_3) | instskip(NEXT) | instid1(VALU_DEP_3)
	v_and_b32_e32 v4, 0xff, v4
	v_subrev_nc_u32_e32 v6, s15, v1
	s_delay_alu instid0(VALU_DEP_2) | instskip(SKIP_1) | instid1(VALU_DEP_1)
	v_dual_cndmask_b32 v1, v2, v4 :: v_dual_mov_b32 v4, 0
	v_mul_u32_u24_e32 v3, 0xa3e, v3
	v_lshrrev_b32_e32 v7, 16, v3
	s_set_inst_prefetch_distance 0x1
	s_branch .LBB21_10
	.p2align	6
.LBB21_9:                               ;   in Loop: Header=BB21_10 Depth=1
	s_or_b32 exec_lo, exec_lo, s15
	v_add_nc_u32_e32 v6, 50, v6
	s_add_i32 s11, s11, 2
	s_delay_alu instid0(SALU_CYCLE_1)
	s_cmp_ge_i32 s11, s9
	s_cbranch_scc1 .LBB21_12
.LBB21_10:                              ; =>This Inner Loop Header: Depth=1
	s_delay_alu instid0(VALU_DEP_1) | instskip(SKIP_1) | instid1(VALU_DEP_1)
	v_add_nc_u32_e32 v2, s11, v7
	s_mov_b32 s15, exec_lo
	v_cmpx_gt_i32_e64 s9, v2
	s_cbranch_execz .LBB21_9
; %bb.11:                               ;   in Loop: Header=BB21_10 Depth=1
	v_ashrrev_i32_e32 v3, 31, v2
	s_delay_alu instid0(VALU_DEP_1) | instskip(SKIP_1) | instid1(VALU_DEP_1)
	v_lshlrev_b64 v[2:3], 2, v[2:3]
	s_waitcnt lgkmcnt(0)
	v_add_co_u32 v2, vcc_lo, s4, v2
	s_delay_alu instid0(VALU_DEP_2) | instskip(SKIP_3) | instid1(VALU_DEP_1)
	v_add_co_ci_u32_e32 v3, vcc_lo, s5, v3, vcc_lo
	global_load_b32 v2, v[2:3], off
	s_waitcnt vmcnt(0)
	v_subrev_nc_u32_e32 v8, s14, v2
	v_mad_u64_u32 v[2:3], null, v8, 5, v[1:2]
	s_delay_alu instid0(VALU_DEP_1) | instskip(SKIP_1) | instid1(VALU_DEP_2)
	v_ashrrev_i32_e32 v3, 31, v2
	v_add_co_u32 v2, vcc_lo, s0, v2
	v_add_co_ci_u32_e32 v3, vcc_lo, s1, v3, vcc_lo
	global_load_i8 v8, v6, s[6:7]
	global_load_i8 v2, v[2:3], off
	s_waitcnt vmcnt(1)
	v_cvt_f32_i32_e32 v3, v8
	s_waitcnt vmcnt(0)
	v_cvt_f32_i32_e32 v2, v2
	s_delay_alu instid0(VALU_DEP_1)
	v_fmac_f32_e32 v4, v3, v2
	s_branch .LBB21_9
.LBB21_12:
	s_set_inst_prefetch_distance 0x2
	v_lshlrev_b32_e32 v1, 2, v0
	s_and_b32 vcc_lo, exec_lo, s3
	ds_store_b32 v1, v4
	s_waitcnt lgkmcnt(0)
	buffer_gl0_inv
	s_cbranch_vccz .LBB21_22
; %bb.13:
	s_mov_b32 s0, exec_lo
	v_cmpx_gt_u32_e32 25, v0
	s_cbranch_execz .LBB21_15
; %bb.14:
	ds_load_2addr_b32 v[2:3], v1 offset1:25
	s_waitcnt lgkmcnt(0)
	v_add_f32_e32 v2, v3, v2
	ds_store_b32 v1, v2
.LBB21_15:
	s_or_b32 exec_lo, exec_lo, s0
	s_delay_alu instid0(SALU_CYCLE_1)
	s_mov_b32 s0, exec_lo
	s_waitcnt lgkmcnt(0)
	buffer_gl0_inv
	v_cmpx_eq_u16_e32 0, v5
	s_cbranch_execz .LBB21_17
; %bb.16:
	ds_load_2addr_b32 v[2:3], v1 offset1:4
	s_waitcnt lgkmcnt(0)
	v_add_f32_e32 v2, v3, v2
	ds_store_b32 v1, v2
.LBB21_17:
	s_or_b32 exec_lo, exec_lo, s0
	s_delay_alu instid0(SALU_CYCLE_1)
	s_mov_b32 s0, exec_lo
	s_waitcnt lgkmcnt(0)
	buffer_gl0_inv
	v_cmpx_gt_u16_e32 2, v5
	s_cbranch_execz .LBB21_19
; %bb.18:
	ds_load_2addr_b32 v[2:3], v1 offset1:2
	s_waitcnt lgkmcnt(0)
	v_add_f32_e32 v2, v3, v2
	ds_store_b32 v1, v2
.LBB21_19:
	s_or_b32 exec_lo, exec_lo, s0
	s_mov_b32 s0, 0
	s_mov_b32 s1, 0
	s_mov_b32 s3, exec_lo
	s_waitcnt lgkmcnt(0)
	buffer_gl0_inv
                                        ; implicit-def: $vgpr2
                                        ; implicit-def: $vgpr3
	v_cmpx_gt_u32_e32 5, v0
	s_xor_b32 s3, exec_lo, s3
; %bb.20:
	v_mad_u32_u24 v2, v0, 5, 1
	v_lshl_add_u32 v3, v0, 4, v1
	s_mov_b32 s1, exec_lo
; %bb.21:
	s_or_b32 exec_lo, exec_lo, s3
	s_delay_alu instid0(SALU_CYCLE_1)
	s_and_b32 vcc_lo, exec_lo, s0
	s_cbranch_vccnz .LBB21_23
	s_branch .LBB21_32
.LBB21_22:
	s_mov_b32 s1, 0
                                        ; implicit-def: $vgpr2
                                        ; implicit-def: $vgpr3
	s_cbranch_execz .LBB21_32
.LBB21_23:
	v_cmp_gt_u32_e32 vcc_lo, 10, v0
	s_and_saveexec_b32 s0, vcc_lo
	s_cbranch_execz .LBB21_25
; %bb.24:
	ds_load_2addr_b32 v[2:3], v1 offset1:40
	s_waitcnt lgkmcnt(0)
	v_add_f32_e32 v2, v3, v2
	ds_store_b32 v1, v2
.LBB21_25:
	s_or_b32 exec_lo, exec_lo, s0
	s_delay_alu instid0(SALU_CYCLE_1)
	s_mov_b32 s3, exec_lo
	s_waitcnt lgkmcnt(0)
	buffer_gl0_inv
	v_cmpx_gt_u32_e32 20, v0
	s_cbranch_execz .LBB21_27
; %bb.26:
	ds_load_2addr_b32 v[2:3], v1 offset1:20
	s_waitcnt lgkmcnt(0)
	v_add_f32_e32 v2, v3, v2
	ds_store_b32 v1, v2
.LBB21_27:
	s_or_b32 exec_lo, exec_lo, s3
	s_waitcnt lgkmcnt(0)
	buffer_gl0_inv
	s_and_saveexec_b32 s0, vcc_lo
	s_cbranch_execz .LBB21_29
; %bb.28:
	ds_load_2addr_b32 v[2:3], v1 offset1:10
	s_waitcnt lgkmcnt(0)
	v_add_f32_e32 v2, v3, v2
	ds_store_b32 v1, v2
.LBB21_29:
	s_or_b32 exec_lo, exec_lo, s0
	s_delay_alu instid0(SALU_CYCLE_1)
	s_mov_b32 s0, exec_lo
	s_waitcnt lgkmcnt(0)
	buffer_gl0_inv
                                        ; implicit-def: $vgpr2
	v_cmpx_gt_u32_e32 5, v0
; %bb.30:
	v_add_nc_u32_e32 v2, 5, v0
	s_or_b32 s1, s1, exec_lo
                                        ; implicit-def: $vgpr4
; %bb.31:
	s_or_b32 exec_lo, exec_lo, s0
	v_mov_b32_e32 v3, v1
.LBB21_32:
	s_and_saveexec_b32 s0, s1
	s_cbranch_execz .LBB21_34
; %bb.33:
	v_lshlrev_b32_e32 v1, 2, v2
	ds_load_b32 v2, v3
	ds_load_b32 v1, v1
	s_waitcnt lgkmcnt(0)
	v_add_f32_e32 v4, v2, v1
.LBB21_34:
	s_or_b32 exec_lo, exec_lo, s0
	s_delay_alu instid0(SALU_CYCLE_1)
	s_mov_b32 s0, exec_lo
	v_cmpx_gt_u32_e32 5, v0
	s_cbranch_execz .LBB21_38
; %bb.35:
	v_cmp_eq_f32_e64 s0, s2, 0
	v_mul_f32_e32 v1, s10, v4
	s_delay_alu instid0(VALU_DEP_2)
	s_and_b32 vcc_lo, exec_lo, s0
	s_mov_b32 s0, 0
	s_cbranch_vccz .LBB21_39
; %bb.36:
	s_delay_alu instid0(VALU_DEP_1) | instskip(SKIP_1) | instid1(VALU_DEP_1)
	v_mad_u64_u32 v[2:3], null, s8, 5, v[0:1]
	v_mov_b32_e32 v3, 0
	v_lshlrev_b64 v[2:3], 2, v[2:3]
	s_delay_alu instid0(VALU_DEP_1) | instskip(NEXT) | instid1(VALU_DEP_2)
	v_add_co_u32 v2, vcc_lo, s12, v2
	v_add_co_ci_u32_e32 v3, vcc_lo, s13, v3, vcc_lo
	global_store_b32 v[2:3], v1, off
	s_and_not1_b32 vcc_lo, exec_lo, s0
	s_cbranch_vccnz .LBB21_38
.LBB21_37:
	v_mad_u64_u32 v[2:3], null, s8, 5, v[0:1]
	v_mov_b32_e32 v3, 0
	s_delay_alu instid0(VALU_DEP_1) | instskip(NEXT) | instid1(VALU_DEP_1)
	v_lshlrev_b64 v[2:3], 2, v[2:3]
	v_add_co_u32 v2, vcc_lo, s12, v2
	s_delay_alu instid0(VALU_DEP_2)
	v_add_co_ci_u32_e32 v3, vcc_lo, s13, v3, vcc_lo
	global_load_b32 v0, v[2:3], off
	s_waitcnt vmcnt(0)
	v_fmac_f32_e32 v1, s2, v0
	global_store_b32 v[2:3], v1, off
.LBB21_38:
	s_nop 0
	s_sendmsg sendmsg(MSG_DEALLOC_VGPRS)
	s_endpgm
.LBB21_39:
	s_branch .LBB21_37
	.section	.rodata,"a",@progbits
	.p2align	6, 0x0
	.amdhsa_kernel _ZN9rocsparseL18bsrxmvn_5x5_kernelILj50EfiiaafEEvT2_20rocsparse_direction_NS_24const_host_device_scalarIT0_EES1_PKS1_PKT1_SA_S7_PKT3_PKT4_S5_PT5_21rocsparse_index_base_b
		.amdhsa_group_segment_fixed_size 200
		.amdhsa_private_segment_fixed_size 0
		.amdhsa_kernarg_size 96
		.amdhsa_user_sgpr_count 15
		.amdhsa_user_sgpr_dispatch_ptr 0
		.amdhsa_user_sgpr_queue_ptr 0
		.amdhsa_user_sgpr_kernarg_segment_ptr 1
		.amdhsa_user_sgpr_dispatch_id 0
		.amdhsa_user_sgpr_private_segment_size 0
		.amdhsa_wavefront_size32 1
		.amdhsa_uses_dynamic_stack 0
		.amdhsa_enable_private_segment 0
		.amdhsa_system_sgpr_workgroup_id_x 1
		.amdhsa_system_sgpr_workgroup_id_y 0
		.amdhsa_system_sgpr_workgroup_id_z 0
		.amdhsa_system_sgpr_workgroup_info 0
		.amdhsa_system_vgpr_workitem_id 0
		.amdhsa_next_free_vgpr 9
		.amdhsa_next_free_sgpr 16
		.amdhsa_reserve_vcc 1
		.amdhsa_float_round_mode_32 0
		.amdhsa_float_round_mode_16_64 0
		.amdhsa_float_denorm_mode_32 3
		.amdhsa_float_denorm_mode_16_64 3
		.amdhsa_dx10_clamp 1
		.amdhsa_ieee_mode 1
		.amdhsa_fp16_overflow 0
		.amdhsa_workgroup_processor_mode 1
		.amdhsa_memory_ordered 1
		.amdhsa_forward_progress 0
		.amdhsa_shared_vgpr_count 0
		.amdhsa_exception_fp_ieee_invalid_op 0
		.amdhsa_exception_fp_denorm_src 0
		.amdhsa_exception_fp_ieee_div_zero 0
		.amdhsa_exception_fp_ieee_overflow 0
		.amdhsa_exception_fp_ieee_underflow 0
		.amdhsa_exception_fp_ieee_inexact 0
		.amdhsa_exception_int_div_zero 0
	.end_amdhsa_kernel
	.section	.text._ZN9rocsparseL18bsrxmvn_5x5_kernelILj50EfiiaafEEvT2_20rocsparse_direction_NS_24const_host_device_scalarIT0_EES1_PKS1_PKT1_SA_S7_PKT3_PKT4_S5_PT5_21rocsparse_index_base_b,"axG",@progbits,_ZN9rocsparseL18bsrxmvn_5x5_kernelILj50EfiiaafEEvT2_20rocsparse_direction_NS_24const_host_device_scalarIT0_EES1_PKS1_PKT1_SA_S7_PKT3_PKT4_S5_PT5_21rocsparse_index_base_b,comdat
.Lfunc_end21:
	.size	_ZN9rocsparseL18bsrxmvn_5x5_kernelILj50EfiiaafEEvT2_20rocsparse_direction_NS_24const_host_device_scalarIT0_EES1_PKS1_PKT1_SA_S7_PKT3_PKT4_S5_PT5_21rocsparse_index_base_b, .Lfunc_end21-_ZN9rocsparseL18bsrxmvn_5x5_kernelILj50EfiiaafEEvT2_20rocsparse_direction_NS_24const_host_device_scalarIT0_EES1_PKS1_PKT1_SA_S7_PKT3_PKT4_S5_PT5_21rocsparse_index_base_b
                                        ; -- End function
	.section	.AMDGPU.csdata,"",@progbits
; Kernel info:
; codeLenInByte = 1324
; NumSgprs: 18
; NumVgprs: 9
; ScratchSize: 0
; MemoryBound: 0
; FloatMode: 240
; IeeeMode: 1
; LDSByteSize: 200 bytes/workgroup (compile time only)
; SGPRBlocks: 2
; VGPRBlocks: 1
; NumSGPRsForWavesPerEU: 18
; NumVGPRsForWavesPerEU: 9
; Occupancy: 16
; WaveLimiterHint : 1
; COMPUTE_PGM_RSRC2:SCRATCH_EN: 0
; COMPUTE_PGM_RSRC2:USER_SGPR: 15
; COMPUTE_PGM_RSRC2:TRAP_HANDLER: 0
; COMPUTE_PGM_RSRC2:TGID_X_EN: 1
; COMPUTE_PGM_RSRC2:TGID_Y_EN: 0
; COMPUTE_PGM_RSRC2:TGID_Z_EN: 0
; COMPUTE_PGM_RSRC2:TIDIG_COMP_CNT: 0
	.section	.text._ZN9rocsparseL18bsrxmvn_5x5_kernelILj50EfliaafEEvT2_20rocsparse_direction_NS_24const_host_device_scalarIT0_EES1_PKS1_PKT1_SA_S7_PKT3_PKT4_S5_PT5_21rocsparse_index_base_b,"axG",@progbits,_ZN9rocsparseL18bsrxmvn_5x5_kernelILj50EfliaafEEvT2_20rocsparse_direction_NS_24const_host_device_scalarIT0_EES1_PKS1_PKT1_SA_S7_PKT3_PKT4_S5_PT5_21rocsparse_index_base_b,comdat
	.globl	_ZN9rocsparseL18bsrxmvn_5x5_kernelILj50EfliaafEEvT2_20rocsparse_direction_NS_24const_host_device_scalarIT0_EES1_PKS1_PKT1_SA_S7_PKT3_PKT4_S5_PT5_21rocsparse_index_base_b ; -- Begin function _ZN9rocsparseL18bsrxmvn_5x5_kernelILj50EfliaafEEvT2_20rocsparse_direction_NS_24const_host_device_scalarIT0_EES1_PKS1_PKT1_SA_S7_PKT3_PKT4_S5_PT5_21rocsparse_index_base_b
	.p2align	8
	.type	_ZN9rocsparseL18bsrxmvn_5x5_kernelILj50EfliaafEEvT2_20rocsparse_direction_NS_24const_host_device_scalarIT0_EES1_PKS1_PKT1_SA_S7_PKT3_PKT4_S5_PT5_21rocsparse_index_base_b,@function
_ZN9rocsparseL18bsrxmvn_5x5_kernelILj50EfliaafEEvT2_20rocsparse_direction_NS_24const_host_device_scalarIT0_EES1_PKS1_PKT1_SA_S7_PKT3_PKT4_S5_PT5_21rocsparse_index_base_b: ; @_ZN9rocsparseL18bsrxmvn_5x5_kernelILj50EfliaafEEvT2_20rocsparse_direction_NS_24const_host_device_scalarIT0_EES1_PKS1_PKT1_SA_S7_PKT3_PKT4_S5_PT5_21rocsparse_index_base_b
; %bb.0:
	s_mov_b32 s10, s15
	s_clause 0x2
	s_load_b64 s[14:15], s[0:1], 0x58
	s_load_b64 s[12:13], s[0:1], 0x8
	;; [unrolled: 1-line block ×3, first 2 shown]
	s_waitcnt lgkmcnt(0)
	s_bitcmp1_b32 s15, 0
	s_cselect_b32 s2, -1, 0
	s_delay_alu instid0(SALU_CYCLE_1)
	s_and_b32 vcc_lo, exec_lo, s2
	s_xor_b32 s2, s2, -1
	s_cbranch_vccnz .LBB22_2
; %bb.1:
	s_load_b32 s12, s[12:13], 0x0
.LBB22_2:
	s_and_not1_b32 vcc_lo, exec_lo, s2
	s_cbranch_vccnz .LBB22_4
; %bb.3:
	s_load_b32 s8, s[8:9], 0x0
.LBB22_4:
	s_waitcnt lgkmcnt(0)
	v_cmp_neq_f32_e64 s2, s12, 0
	v_cmp_neq_f32_e64 s3, s8, 1.0
	s_delay_alu instid0(VALU_DEP_1) | instskip(NEXT) | instid1(SALU_CYCLE_1)
	s_or_b32 s2, s2, s3
	s_and_not1_b32 vcc_lo, exec_lo, s2
	s_cbranch_vccnz .LBB22_38
; %bb.5:
	s_clause 0x1
	s_load_b128 s[4:7], s[0:1], 0x18
	s_load_b64 s[16:17], s[0:1], 0x28
	s_waitcnt lgkmcnt(0)
	s_cmp_eq_u64 s[4:5], 0
	s_cbranch_scc1 .LBB22_7
; %bb.6:
	s_ashr_i32 s11, s10, 31
	s_delay_alu instid0(SALU_CYCLE_1) | instskip(NEXT) | instid1(SALU_CYCLE_1)
	s_lshl_b64 s[2:3], s[10:11], 2
	s_add_u32 s2, s4, s2
	s_addc_u32 s3, s5, s3
	s_load_b32 s2, s[2:3], 0x0
	s_waitcnt lgkmcnt(0)
	s_sub_i32 s10, s2, s14
.LBB22_7:
	s_load_b32 s3, s[0:1], 0x4
	v_mul_u32_u24_e32 v1, 0x3334, v0
	s_delay_alu instid0(VALU_DEP_1) | instskip(NEXT) | instid1(VALU_DEP_1)
	v_lshrrev_b32_e32 v2, 16, v1
	v_mul_lo_u16 v1, v2, 5
	s_delay_alu instid0(VALU_DEP_1)
	v_sub_nc_u16 v7, v0, v1
	v_mov_b32_e32 v1, 0
	s_waitcnt lgkmcnt(0)
	s_cmp_eq_u32 s3, 1
	s_cselect_b32 s2, -1, 0
	s_cmp_lg_u32 s3, 1
	s_cselect_b32 s9, -1, 0
	s_ashr_i32 s11, s10, 31
	s_delay_alu instid0(SALU_CYCLE_1) | instskip(NEXT) | instid1(SALU_CYCLE_1)
	s_lshl_b64 s[4:5], s[10:11], 3
	s_add_u32 s6, s6, s4
	s_addc_u32 s7, s7, s5
	s_add_u32 s3, s6, 8
	s_addc_u32 s11, s7, 0
	;; [unrolled: 2-line block ×3, first 2 shown]
	s_cmp_eq_u64 s[16:17], 0
	s_cselect_b32 s5, s11, s5
	s_cselect_b32 s4, s3, s4
	s_load_b64 s[16:17], s[6:7], 0x0
	s_load_b64 s[6:7], s[4:5], 0x0
	;; [unrolled: 1-line block ×3, first 2 shown]
	s_waitcnt lgkmcnt(0)
	v_cmp_ge_i64_e64 s3, s[16:17], s[6:7]
	s_delay_alu instid0(VALU_DEP_1)
	s_and_b32 vcc_lo, exec_lo, s3
	s_cbranch_vccnz .LBB22_12
; %bb.8:
	v_mul_lo_u16 v3, v2, 52
	v_dual_mov_b32 v1, 0 :: v_dual_and_b32 v6, 0xffff, v0
	s_clause 0x1
	s_load_b128 s[20:23], s[0:1], 0x30
	s_load_b64 s[0:1], s[0:1], 0x40
	v_and_b32_e32 v9, 0xffff, v7
	v_lshrrev_b16 v5, 8, v3
	v_mad_u64_u32 v[3:4], null, s16, 25, v[0:1]
	v_mul_u32_u24_e32 v6, 0xa3e, v6
	s_mul_i32 s11, s14, 25
	s_delay_alu instid0(VALU_DEP_3)
	v_mul_lo_u16 v5, v5, 5
	s_mul_hi_u32 s3, s14, 25
	s_sub_u32 s6, s6, s14
	v_lshrrev_b32_e32 v8, 16, v6
	s_subb_u32 s7, s7, 0
	v_sub_nc_u16 v2, v2, v5
	v_mad_u64_u32 v[5:6], null, s17, 25, v[4:5]
	s_delay_alu instid0(VALU_DEP_3) | instskip(NEXT) | instid1(VALU_DEP_3)
	v_add_co_u32 v4, s13, s16, v8
	v_and_b32_e32 v2, 0xff, v2
	v_add_co_ci_u32_e64 v6, null, s17, 0, s13
	s_delay_alu instid0(VALU_DEP_3) | instskip(NEXT) | instid1(VALU_DEP_3)
	v_sub_co_u32 v4, vcc_lo, v4, s14
	v_cndmask_b32_e64 v2, v9, v2, s2
	v_mov_b32_e32 v9, v5
	s_delay_alu instid0(VALU_DEP_4) | instskip(SKIP_1) | instid1(VALU_DEP_3)
	v_subrev_co_ci_u32_e32 v5, vcc_lo, 0, v6, vcc_lo
	v_sub_co_u32 v3, vcc_lo, v3, s11
	v_subrev_co_ci_u32_e32 v9, vcc_lo, s3, v9, vcc_lo
	s_delay_alu instid0(VALU_DEP_3) | instskip(SKIP_1) | instid1(VALU_DEP_3)
	v_lshlrev_b64 v[5:6], 2, v[4:5]
	s_waitcnt lgkmcnt(0)
	v_add_co_u32 v3, vcc_lo, s22, v3
	s_delay_alu instid0(VALU_DEP_3) | instskip(SKIP_1) | instid1(VALU_DEP_3)
	v_add_co_ci_u32_e32 v4, vcc_lo, s23, v9, vcc_lo
	s_sub_u32 s2, s16, s14
	v_add_co_u32 v5, vcc_lo, s20, v5
	v_add_co_ci_u32_e32 v6, vcc_lo, s21, v6, vcc_lo
	s_subb_u32 s3, s17, 0
	s_set_inst_prefetch_distance 0x1
	s_branch .LBB22_10
	.p2align	6
.LBB22_9:                               ;   in Loop: Header=BB22_10 Depth=1
	s_or_b32 exec_lo, exec_lo, s11
	s_add_u32 s2, s2, 2
	s_addc_u32 s3, s3, 0
	v_add_co_u32 v3, vcc_lo, v3, 50
	v_cmp_ge_i64_e64 s11, s[2:3], s[6:7]
	v_add_co_ci_u32_e32 v4, vcc_lo, 0, v4, vcc_lo
	v_add_co_u32 v5, vcc_lo, v5, 8
	v_add_co_ci_u32_e32 v6, vcc_lo, 0, v6, vcc_lo
	s_delay_alu instid0(VALU_DEP_4)
	s_and_b32 vcc_lo, exec_lo, s11
	s_cbranch_vccnz .LBB22_12
.LBB22_10:                              ; =>This Inner Loop Header: Depth=1
	v_add_co_u32 v9, s11, v8, s2
	s_delay_alu instid0(VALU_DEP_1) | instskip(SKIP_1) | instid1(VALU_DEP_1)
	v_add_co_ci_u32_e64 v10, null, 0, s3, s11
	s_mov_b32 s11, exec_lo
	v_cmpx_gt_i64_e64 s[6:7], v[9:10]
	s_cbranch_execz .LBB22_9
; %bb.11:                               ;   in Loop: Header=BB22_10 Depth=1
	global_load_b32 v9, v[5:6], off
	s_waitcnt vmcnt(0)
	v_subrev_nc_u32_e32 v11, s14, v9
	s_delay_alu instid0(VALU_DEP_1) | instskip(NEXT) | instid1(VALU_DEP_1)
	v_mad_u64_u32 v[9:10], null, v11, 5, v[2:3]
	v_ashrrev_i32_e32 v10, 31, v9
	v_add_co_u32 v9, vcc_lo, s0, v9
	s_delay_alu instid0(VALU_DEP_2)
	v_add_co_ci_u32_e32 v10, vcc_lo, s1, v10, vcc_lo
	global_load_i8 v11, v[3:4], off
	global_load_i8 v9, v[9:10], off
	s_waitcnt vmcnt(1)
	v_cvt_f32_i32_e32 v10, v11
	s_waitcnt vmcnt(0)
	v_cvt_f32_i32_e32 v9, v9
	s_delay_alu instid0(VALU_DEP_1)
	v_fmac_f32_e32 v1, v10, v9
	s_branch .LBB22_9
.LBB22_12:
	s_set_inst_prefetch_distance 0x2
	v_lshlrev_b32_e32 v2, 2, v0
	s_and_b32 vcc_lo, exec_lo, s9
	ds_store_b32 v2, v1
	s_waitcnt lgkmcnt(0)
	buffer_gl0_inv
	s_cbranch_vccz .LBB22_22
; %bb.13:
	s_mov_b32 s0, exec_lo
	v_cmpx_gt_u32_e32 25, v0
	s_cbranch_execz .LBB22_15
; %bb.14:
	ds_load_2addr_b32 v[3:4], v2 offset1:25
	s_waitcnt lgkmcnt(0)
	v_add_f32_e32 v3, v4, v3
	ds_store_b32 v2, v3
.LBB22_15:
	s_or_b32 exec_lo, exec_lo, s0
	s_delay_alu instid0(SALU_CYCLE_1)
	s_mov_b32 s0, exec_lo
	s_waitcnt lgkmcnt(0)
	buffer_gl0_inv
	v_cmpx_eq_u16_e32 0, v7
	s_cbranch_execz .LBB22_17
; %bb.16:
	ds_load_2addr_b32 v[3:4], v2 offset1:4
	s_waitcnt lgkmcnt(0)
	v_add_f32_e32 v3, v4, v3
	ds_store_b32 v2, v3
.LBB22_17:
	s_or_b32 exec_lo, exec_lo, s0
	s_delay_alu instid0(SALU_CYCLE_1)
	s_mov_b32 s0, exec_lo
	s_waitcnt lgkmcnt(0)
	buffer_gl0_inv
	v_cmpx_gt_u16_e32 2, v7
	s_cbranch_execz .LBB22_19
; %bb.18:
	ds_load_2addr_b32 v[3:4], v2 offset1:2
	s_waitcnt lgkmcnt(0)
	v_add_f32_e32 v3, v4, v3
	ds_store_b32 v2, v3
.LBB22_19:
	s_or_b32 exec_lo, exec_lo, s0
	s_mov_b32 s0, 0
	s_mov_b32 s1, 0
	s_mov_b32 s2, exec_lo
	s_waitcnt lgkmcnt(0)
	buffer_gl0_inv
                                        ; implicit-def: $vgpr3
                                        ; implicit-def: $vgpr4
	v_cmpx_gt_u32_e32 5, v0
	s_xor_b32 s2, exec_lo, s2
; %bb.20:
	v_mad_u32_u24 v3, v0, 5, 1
	v_lshl_add_u32 v4, v0, 4, v2
	s_mov_b32 s1, exec_lo
; %bb.21:
	s_or_b32 exec_lo, exec_lo, s2
	s_delay_alu instid0(SALU_CYCLE_1)
	s_and_b32 vcc_lo, exec_lo, s0
	s_cbranch_vccnz .LBB22_23
	s_branch .LBB22_32
.LBB22_22:
	s_mov_b32 s1, 0
                                        ; implicit-def: $vgpr3
                                        ; implicit-def: $vgpr4
	s_cbranch_execz .LBB22_32
.LBB22_23:
	v_cmp_gt_u32_e32 vcc_lo, 10, v0
	s_and_saveexec_b32 s0, vcc_lo
	s_cbranch_execz .LBB22_25
; %bb.24:
	ds_load_2addr_b32 v[3:4], v2 offset1:40
	s_waitcnt lgkmcnt(0)
	v_add_f32_e32 v3, v4, v3
	ds_store_b32 v2, v3
.LBB22_25:
	s_or_b32 exec_lo, exec_lo, s0
	s_delay_alu instid0(SALU_CYCLE_1)
	s_mov_b32 s2, exec_lo
	s_waitcnt lgkmcnt(0)
	buffer_gl0_inv
	v_cmpx_gt_u32_e32 20, v0
	s_cbranch_execz .LBB22_27
; %bb.26:
	ds_load_2addr_b32 v[3:4], v2 offset1:20
	s_waitcnt lgkmcnt(0)
	v_add_f32_e32 v3, v4, v3
	ds_store_b32 v2, v3
.LBB22_27:
	s_or_b32 exec_lo, exec_lo, s2
	s_waitcnt lgkmcnt(0)
	buffer_gl0_inv
	s_and_saveexec_b32 s0, vcc_lo
	s_cbranch_execz .LBB22_29
; %bb.28:
	ds_load_2addr_b32 v[3:4], v2 offset1:10
	s_waitcnt lgkmcnt(0)
	v_add_f32_e32 v3, v4, v3
	ds_store_b32 v2, v3
.LBB22_29:
	s_or_b32 exec_lo, exec_lo, s0
	s_delay_alu instid0(SALU_CYCLE_1)
	s_mov_b32 s0, exec_lo
	s_waitcnt lgkmcnt(0)
	buffer_gl0_inv
                                        ; implicit-def: $vgpr3
	v_cmpx_gt_u32_e32 5, v0
; %bb.30:
	v_add_nc_u32_e32 v3, 5, v0
	s_or_b32 s1, s1, exec_lo
; %bb.31:
	s_or_b32 exec_lo, exec_lo, s0
	v_mov_b32_e32 v4, v2
.LBB22_32:
	s_and_saveexec_b32 s0, s1
	s_cbranch_execz .LBB22_34
; %bb.33:
	v_lshlrev_b32_e32 v1, 2, v3
	ds_load_b32 v2, v4
	ds_load_b32 v1, v1
	s_waitcnt lgkmcnt(0)
	v_add_f32_e32 v1, v2, v1
.LBB22_34:
	s_or_b32 exec_lo, exec_lo, s0
	s_delay_alu instid0(SALU_CYCLE_1)
	s_mov_b32 s0, exec_lo
	v_cmpx_gt_u32_e32 5, v0
	s_cbranch_execz .LBB22_38
; %bb.35:
	v_cmp_eq_f32_e64 s0, s8, 0
	v_mul_f32_e32 v1, s12, v1
	s_delay_alu instid0(VALU_DEP_2)
	s_and_b32 vcc_lo, exec_lo, s0
	s_mov_b32 s0, 0
	s_cbranch_vccz .LBB22_39
; %bb.36:
	s_delay_alu instid0(VALU_DEP_1) | instskip(SKIP_1) | instid1(VALU_DEP_1)
	v_mad_u64_u32 v[2:3], null, s10, 5, v[0:1]
	v_mov_b32_e32 v3, 0
	v_lshlrev_b64 v[2:3], 2, v[2:3]
	s_delay_alu instid0(VALU_DEP_1) | instskip(NEXT) | instid1(VALU_DEP_2)
	v_add_co_u32 v2, vcc_lo, s4, v2
	v_add_co_ci_u32_e32 v3, vcc_lo, s5, v3, vcc_lo
	global_store_b32 v[2:3], v1, off
	s_and_not1_b32 vcc_lo, exec_lo, s0
	s_cbranch_vccnz .LBB22_38
.LBB22_37:
	v_mad_u64_u32 v[2:3], null, s10, 5, v[0:1]
	v_mov_b32_e32 v3, 0
	s_delay_alu instid0(VALU_DEP_1) | instskip(NEXT) | instid1(VALU_DEP_1)
	v_lshlrev_b64 v[2:3], 2, v[2:3]
	v_add_co_u32 v2, vcc_lo, s4, v2
	s_delay_alu instid0(VALU_DEP_2)
	v_add_co_ci_u32_e32 v3, vcc_lo, s5, v3, vcc_lo
	global_load_b32 v0, v[2:3], off
	s_waitcnt vmcnt(0)
	v_fmac_f32_e32 v1, s8, v0
	global_store_b32 v[2:3], v1, off
.LBB22_38:
	s_nop 0
	s_sendmsg sendmsg(MSG_DEALLOC_VGPRS)
	s_endpgm
.LBB22_39:
	s_branch .LBB22_37
	.section	.rodata,"a",@progbits
	.p2align	6, 0x0
	.amdhsa_kernel _ZN9rocsparseL18bsrxmvn_5x5_kernelILj50EfliaafEEvT2_20rocsparse_direction_NS_24const_host_device_scalarIT0_EES1_PKS1_PKT1_SA_S7_PKT3_PKT4_S5_PT5_21rocsparse_index_base_b
		.amdhsa_group_segment_fixed_size 200
		.amdhsa_private_segment_fixed_size 0
		.amdhsa_kernarg_size 96
		.amdhsa_user_sgpr_count 15
		.amdhsa_user_sgpr_dispatch_ptr 0
		.amdhsa_user_sgpr_queue_ptr 0
		.amdhsa_user_sgpr_kernarg_segment_ptr 1
		.amdhsa_user_sgpr_dispatch_id 0
		.amdhsa_user_sgpr_private_segment_size 0
		.amdhsa_wavefront_size32 1
		.amdhsa_uses_dynamic_stack 0
		.amdhsa_enable_private_segment 0
		.amdhsa_system_sgpr_workgroup_id_x 1
		.amdhsa_system_sgpr_workgroup_id_y 0
		.amdhsa_system_sgpr_workgroup_id_z 0
		.amdhsa_system_sgpr_workgroup_info 0
		.amdhsa_system_vgpr_workitem_id 0
		.amdhsa_next_free_vgpr 12
		.amdhsa_next_free_sgpr 24
		.amdhsa_reserve_vcc 1
		.amdhsa_float_round_mode_32 0
		.amdhsa_float_round_mode_16_64 0
		.amdhsa_float_denorm_mode_32 3
		.amdhsa_float_denorm_mode_16_64 3
		.amdhsa_dx10_clamp 1
		.amdhsa_ieee_mode 1
		.amdhsa_fp16_overflow 0
		.amdhsa_workgroup_processor_mode 1
		.amdhsa_memory_ordered 1
		.amdhsa_forward_progress 0
		.amdhsa_shared_vgpr_count 0
		.amdhsa_exception_fp_ieee_invalid_op 0
		.amdhsa_exception_fp_denorm_src 0
		.amdhsa_exception_fp_ieee_div_zero 0
		.amdhsa_exception_fp_ieee_overflow 0
		.amdhsa_exception_fp_ieee_underflow 0
		.amdhsa_exception_fp_ieee_inexact 0
		.amdhsa_exception_int_div_zero 0
	.end_amdhsa_kernel
	.section	.text._ZN9rocsparseL18bsrxmvn_5x5_kernelILj50EfliaafEEvT2_20rocsparse_direction_NS_24const_host_device_scalarIT0_EES1_PKS1_PKT1_SA_S7_PKT3_PKT4_S5_PT5_21rocsparse_index_base_b,"axG",@progbits,_ZN9rocsparseL18bsrxmvn_5x5_kernelILj50EfliaafEEvT2_20rocsparse_direction_NS_24const_host_device_scalarIT0_EES1_PKS1_PKT1_SA_S7_PKT3_PKT4_S5_PT5_21rocsparse_index_base_b,comdat
.Lfunc_end22:
	.size	_ZN9rocsparseL18bsrxmvn_5x5_kernelILj50EfliaafEEvT2_20rocsparse_direction_NS_24const_host_device_scalarIT0_EES1_PKS1_PKT1_SA_S7_PKT3_PKT4_S5_PT5_21rocsparse_index_base_b, .Lfunc_end22-_ZN9rocsparseL18bsrxmvn_5x5_kernelILj50EfliaafEEvT2_20rocsparse_direction_NS_24const_host_device_scalarIT0_EES1_PKS1_PKT1_SA_S7_PKT3_PKT4_S5_PT5_21rocsparse_index_base_b
                                        ; -- End function
	.section	.AMDGPU.csdata,"",@progbits
; Kernel info:
; codeLenInByte = 1460
; NumSgprs: 26
; NumVgprs: 12
; ScratchSize: 0
; MemoryBound: 0
; FloatMode: 240
; IeeeMode: 1
; LDSByteSize: 200 bytes/workgroup (compile time only)
; SGPRBlocks: 3
; VGPRBlocks: 1
; NumSGPRsForWavesPerEU: 26
; NumVGPRsForWavesPerEU: 12
; Occupancy: 16
; WaveLimiterHint : 1
; COMPUTE_PGM_RSRC2:SCRATCH_EN: 0
; COMPUTE_PGM_RSRC2:USER_SGPR: 15
; COMPUTE_PGM_RSRC2:TRAP_HANDLER: 0
; COMPUTE_PGM_RSRC2:TGID_X_EN: 1
; COMPUTE_PGM_RSRC2:TGID_Y_EN: 0
; COMPUTE_PGM_RSRC2:TGID_Z_EN: 0
; COMPUTE_PGM_RSRC2:TIDIG_COMP_CNT: 0
	.section	.text._ZN9rocsparseL18bsrxmvn_5x5_kernelILj50EfllaafEEvT2_20rocsparse_direction_NS_24const_host_device_scalarIT0_EES1_PKS1_PKT1_SA_S7_PKT3_PKT4_S5_PT5_21rocsparse_index_base_b,"axG",@progbits,_ZN9rocsparseL18bsrxmvn_5x5_kernelILj50EfllaafEEvT2_20rocsparse_direction_NS_24const_host_device_scalarIT0_EES1_PKS1_PKT1_SA_S7_PKT3_PKT4_S5_PT5_21rocsparse_index_base_b,comdat
	.globl	_ZN9rocsparseL18bsrxmvn_5x5_kernelILj50EfllaafEEvT2_20rocsparse_direction_NS_24const_host_device_scalarIT0_EES1_PKS1_PKT1_SA_S7_PKT3_PKT4_S5_PT5_21rocsparse_index_base_b ; -- Begin function _ZN9rocsparseL18bsrxmvn_5x5_kernelILj50EfllaafEEvT2_20rocsparse_direction_NS_24const_host_device_scalarIT0_EES1_PKS1_PKT1_SA_S7_PKT3_PKT4_S5_PT5_21rocsparse_index_base_b
	.p2align	8
	.type	_ZN9rocsparseL18bsrxmvn_5x5_kernelILj50EfllaafEEvT2_20rocsparse_direction_NS_24const_host_device_scalarIT0_EES1_PKS1_PKT1_SA_S7_PKT3_PKT4_S5_PT5_21rocsparse_index_base_b,@function
_ZN9rocsparseL18bsrxmvn_5x5_kernelILj50EfllaafEEvT2_20rocsparse_direction_NS_24const_host_device_scalarIT0_EES1_PKS1_PKT1_SA_S7_PKT3_PKT4_S5_PT5_21rocsparse_index_base_b: ; @_ZN9rocsparseL18bsrxmvn_5x5_kernelILj50EfllaafEEvT2_20rocsparse_direction_NS_24const_host_device_scalarIT0_EES1_PKS1_PKT1_SA_S7_PKT3_PKT4_S5_PT5_21rocsparse_index_base_b
; %bb.0:
	s_mov_b32 s10, s15
	s_clause 0x2
	s_load_b64 s[14:15], s[0:1], 0x60
	s_load_b64 s[12:13], s[0:1], 0x10
	;; [unrolled: 1-line block ×3, first 2 shown]
	s_waitcnt lgkmcnt(0)
	s_bitcmp1_b32 s15, 0
	s_cselect_b32 s2, -1, 0
	s_delay_alu instid0(SALU_CYCLE_1)
	s_and_b32 vcc_lo, exec_lo, s2
	s_xor_b32 s2, s2, -1
	s_cbranch_vccnz .LBB23_2
; %bb.1:
	s_load_b32 s12, s[12:13], 0x0
.LBB23_2:
	s_and_not1_b32 vcc_lo, exec_lo, s2
	s_cbranch_vccnz .LBB23_4
; %bb.3:
	s_load_b32 s8, s[8:9], 0x0
.LBB23_4:
	s_waitcnt lgkmcnt(0)
	v_cmp_neq_f32_e64 s2, s12, 0
	v_cmp_neq_f32_e64 s3, s8, 1.0
	s_mov_b32 s11, 0
	s_delay_alu instid0(VALU_DEP_1) | instskip(NEXT) | instid1(SALU_CYCLE_1)
	s_or_b32 s2, s2, s3
	s_and_not1_b32 vcc_lo, exec_lo, s2
	s_cbranch_vccnz .LBB23_41
; %bb.5:
	s_clause 0x1
	s_load_b128 s[4:7], s[0:1], 0x20
	s_load_b64 s[16:17], s[0:1], 0x30
	s_waitcnt lgkmcnt(0)
	s_cmp_eq_u64 s[4:5], 0
	s_cbranch_scc1 .LBB23_7
; %bb.6:
	s_lshl_b64 s[2:3], s[10:11], 3
	s_delay_alu instid0(SALU_CYCLE_1)
	s_add_u32 s2, s4, s2
	s_addc_u32 s3, s5, s3
	s_load_b64 s[2:3], s[2:3], 0x0
	s_waitcnt lgkmcnt(0)
	s_sub_u32 s10, s2, s14
	s_subb_u32 s11, s3, 0
.LBB23_7:
	s_load_b32 s3, s[0:1], 0x8
	v_mul_u32_u24_e32 v1, 0x3334, v0
	s_delay_alu instid0(VALU_DEP_1) | instskip(NEXT) | instid1(VALU_DEP_1)
	v_lshrrev_b32_e32 v2, 16, v1
	v_mul_lo_u16 v3, v2, 5
	s_waitcnt lgkmcnt(0)
	s_cmp_eq_u32 s3, 1
	s_cselect_b32 s2, -1, 0
	s_cmp_lg_u32 s3, 1
	s_cselect_b32 s9, -1, 0
	s_lshl_b64 s[4:5], s[10:11], 3
	s_delay_alu instid0(SALU_CYCLE_1)
	s_add_u32 s6, s6, s4
	s_addc_u32 s7, s7, s5
	s_add_u32 s3, s6, 8
	s_addc_u32 s13, s7, 0
	s_add_u32 s4, s16, s4
	s_addc_u32 s5, s17, s5
	s_cmp_eq_u64 s[16:17], 0
	s_cselect_b32 s5, s13, s5
	s_cselect_b32 s4, s3, s4
	s_load_b64 s[6:7], s[6:7], 0x0
	s_load_b64 s[16:17], s[4:5], 0x0
	s_waitcnt lgkmcnt(0)
	v_cmp_lt_i64_e64 s3, s[6:7], s[16:17]
	s_delay_alu instid0(VALU_DEP_1)
	s_and_b32 vcc_lo, exec_lo, s3
	s_cbranch_vccnz .LBB23_9
; %bb.8:
	v_mov_b32_e32 v1, 0
	s_mov_b32 s3, 0
	s_branch .LBB23_10
.LBB23_9:
	s_mov_b32 s3, -1
.LBB23_10:
	s_load_b64 s[4:5], s[0:1], 0x58
	v_cndmask_b32_e64 v4, 0, 1, s3
	v_sub_nc_u16 v9, v0, v3
	v_mov_b32_e32 v8, s3
	s_delay_alu instid0(VALU_DEP_3)
	v_cmp_ne_u32_e32 vcc_lo, 1, v4
	s_cbranch_vccnz .LBB23_15
; %bb.11:
	v_mul_lo_u16 v3, v2, 52
	v_dual_mov_b32 v1, 0 :: v_dual_and_b32 v6, 0xffff, v0
	s_clause 0x1
	s_load_b64 s[18:19], s[0:1], 0x48
	s_load_b128 s[20:23], s[0:1], 0x38
	s_mul_i32 s3, s14, 25
	v_lshrrev_b16 v3, 8, v3
	v_mad_u64_u32 v[4:5], null, s6, 25, v[0:1]
	v_mul_u32_u24_e32 v6, 0xa3e, v6
	v_and_b32_e32 v7, 0xffff, v9
	s_delay_alu instid0(VALU_DEP_4) | instskip(SKIP_3) | instid1(VALU_DEP_2)
	v_mul_lo_u16 v3, v3, 5
	s_mul_hi_u32 s1, s14, 25
	s_sub_u32 s0, s16, s14
	v_lshrrev_b32_e32 v10, 16, v6
	v_sub_nc_u16 v3, v2, v3
	s_delay_alu instid0(VALU_DEP_1) | instskip(NEXT) | instid1(VALU_DEP_1)
	v_dual_mov_b32 v2, v5 :: v_dual_and_b32 v3, 0xff, v3
	v_mad_u64_u32 v[5:6], null, s7, 25, v[2:3]
	s_delay_alu instid0(VALU_DEP_1) | instskip(SKIP_2) | instid1(VALU_DEP_1)
	v_mov_b32_e32 v8, v5
	v_cndmask_b32_e64 v2, v7, v3, s2
	v_add_co_u32 v6, s2, s6, v10
	v_add_co_ci_u32_e64 v7, null, s7, 0, s2
	s_waitcnt lgkmcnt(0)
	s_delay_alu instid0(VALU_DEP_3) | instskip(NEXT) | instid1(VALU_DEP_3)
	v_add_co_u32 v2, s2, s18, v2
	v_sub_co_u32 v5, vcc_lo, v6, s14
	s_delay_alu instid0(VALU_DEP_3) | instskip(SKIP_2) | instid1(VALU_DEP_3)
	v_subrev_co_ci_u32_e32 v6, vcc_lo, 0, v7, vcc_lo
	v_sub_co_u32 v4, vcc_lo, v4, s3
	v_subrev_co_ci_u32_e32 v8, vcc_lo, s1, v8, vcc_lo
	v_lshlrev_b64 v[6:7], 3, v[5:6]
	s_delay_alu instid0(VALU_DEP_3) | instskip(NEXT) | instid1(VALU_DEP_3)
	v_add_co_u32 v4, vcc_lo, s22, v4
	v_add_co_ci_u32_e32 v5, vcc_lo, s23, v8, vcc_lo
	v_add_co_ci_u32_e64 v3, null, s19, 0, s2
	s_delay_alu instid0(VALU_DEP_4)
	v_add_co_u32 v6, vcc_lo, s20, v6
	v_add_co_ci_u32_e32 v7, vcc_lo, s21, v7, vcc_lo
	v_mov_b32_e32 v8, v1
	s_subb_u32 s1, s17, 0
	s_sub_u32 s2, s6, s14
	s_subb_u32 s3, s7, 0
	s_set_inst_prefetch_distance 0x1
	s_branch .LBB23_13
	.p2align	6
.LBB23_12:                              ;   in Loop: Header=BB23_13 Depth=1
	s_or_b32 exec_lo, exec_lo, s6
	s_add_u32 s2, s2, 2
	s_addc_u32 s3, s3, 0
	v_add_co_u32 v4, vcc_lo, v4, 50
	v_cmp_ge_i64_e64 s6, s[2:3], s[0:1]
	v_add_co_ci_u32_e32 v5, vcc_lo, 0, v5, vcc_lo
	v_add_co_u32 v6, vcc_lo, v6, 16
	v_add_co_ci_u32_e32 v7, vcc_lo, 0, v7, vcc_lo
	s_delay_alu instid0(VALU_DEP_4)
	s_and_b32 vcc_lo, exec_lo, s6
	s_cbranch_vccnz .LBB23_15
.LBB23_13:                              ; =>This Inner Loop Header: Depth=1
	v_add_co_u32 v11, s6, v10, s2
	s_delay_alu instid0(VALU_DEP_1) | instskip(SKIP_1) | instid1(VALU_DEP_1)
	v_add_co_ci_u32_e64 v12, null, 0, s3, s6
	s_mov_b32 s6, exec_lo
	v_cmpx_gt_i64_e64 s[0:1], v[11:12]
	s_cbranch_execz .LBB23_12
; %bb.14:                               ;   in Loop: Header=BB23_13 Depth=1
	global_load_b64 v[11:12], v[6:7], off
	s_waitcnt vmcnt(0)
	v_sub_co_u32 v13, vcc_lo, v11, s14
	v_subrev_co_ci_u32_e32 v15, vcc_lo, 0, v12, vcc_lo
	s_delay_alu instid0(VALU_DEP_2) | instskip(NEXT) | instid1(VALU_DEP_1)
	v_mad_u64_u32 v[11:12], null, v13, 5, v[2:3]
	v_mad_u64_u32 v[13:14], null, v15, 5, v[12:13]
	s_delay_alu instid0(VALU_DEP_1)
	v_mov_b32_e32 v12, v13
	global_load_i8 v13, v[4:5], off
	global_load_i8 v11, v[11:12], off
	s_waitcnt vmcnt(1)
	v_cvt_f32_i32_e32 v12, v13
	s_waitcnt vmcnt(0)
	v_cvt_f32_i32_e32 v11, v11
	s_delay_alu instid0(VALU_DEP_1)
	v_fmac_f32_e32 v8, v12, v11
	s_branch .LBB23_12
.LBB23_15:
	s_set_inst_prefetch_distance 0x2
	v_lshlrev_b32_e32 v2, 2, v0
	s_and_b32 vcc_lo, exec_lo, s9
	ds_store_b32 v2, v8
	s_waitcnt lgkmcnt(0)
	buffer_gl0_inv
	s_cbranch_vccz .LBB23_25
; %bb.16:
	s_mov_b32 s0, exec_lo
	v_cmpx_gt_u32_e32 25, v0
	s_cbranch_execz .LBB23_18
; %bb.17:
	ds_load_2addr_b32 v[3:4], v2 offset1:25
	s_waitcnt lgkmcnt(0)
	v_add_f32_e32 v3, v4, v3
	ds_store_b32 v2, v3
.LBB23_18:
	s_or_b32 exec_lo, exec_lo, s0
	s_delay_alu instid0(SALU_CYCLE_1)
	s_mov_b32 s0, exec_lo
	s_waitcnt lgkmcnt(0)
	buffer_gl0_inv
	v_cmpx_eq_u16_e32 0, v9
	s_cbranch_execz .LBB23_20
; %bb.19:
	ds_load_2addr_b32 v[3:4], v2 offset1:4
	s_waitcnt lgkmcnt(0)
	v_add_f32_e32 v3, v4, v3
	ds_store_b32 v2, v3
.LBB23_20:
	s_or_b32 exec_lo, exec_lo, s0
	s_delay_alu instid0(SALU_CYCLE_1)
	s_mov_b32 s0, exec_lo
	s_waitcnt lgkmcnt(0)
	buffer_gl0_inv
	v_cmpx_gt_u16_e32 2, v9
	s_cbranch_execz .LBB23_22
; %bb.21:
	ds_load_2addr_b32 v[3:4], v2 offset1:2
	s_waitcnt lgkmcnt(0)
	v_add_f32_e32 v3, v4, v3
	ds_store_b32 v2, v3
.LBB23_22:
	s_or_b32 exec_lo, exec_lo, s0
	s_mov_b32 s0, 0
	s_mov_b32 s1, 0
	s_mov_b32 s2, exec_lo
	s_waitcnt lgkmcnt(0)
	buffer_gl0_inv
                                        ; implicit-def: $vgpr3
                                        ; implicit-def: $vgpr4
	v_cmpx_gt_u32_e32 5, v0
	s_xor_b32 s2, exec_lo, s2
; %bb.23:
	v_mad_u32_u24 v3, v0, 5, 1
	v_lshl_add_u32 v4, v0, 4, v2
	s_mov_b32 s1, exec_lo
; %bb.24:
	s_or_b32 exec_lo, exec_lo, s2
	s_delay_alu instid0(SALU_CYCLE_1)
	s_and_b32 vcc_lo, exec_lo, s0
	s_cbranch_vccnz .LBB23_26
	s_branch .LBB23_35
.LBB23_25:
	s_mov_b32 s1, 0
                                        ; implicit-def: $vgpr3
                                        ; implicit-def: $vgpr4
	s_cbranch_execz .LBB23_35
.LBB23_26:
	v_cmp_gt_u32_e32 vcc_lo, 10, v0
	s_and_saveexec_b32 s0, vcc_lo
	s_cbranch_execz .LBB23_28
; %bb.27:
	ds_load_2addr_b32 v[3:4], v2 offset1:40
	s_waitcnt lgkmcnt(0)
	v_add_f32_e32 v3, v4, v3
	ds_store_b32 v2, v3
.LBB23_28:
	s_or_b32 exec_lo, exec_lo, s0
	s_delay_alu instid0(SALU_CYCLE_1)
	s_mov_b32 s2, exec_lo
	s_waitcnt lgkmcnt(0)
	buffer_gl0_inv
	v_cmpx_gt_u32_e32 20, v0
	s_cbranch_execz .LBB23_30
; %bb.29:
	ds_load_2addr_b32 v[3:4], v2 offset1:20
	s_waitcnt lgkmcnt(0)
	v_add_f32_e32 v3, v4, v3
	ds_store_b32 v2, v3
.LBB23_30:
	s_or_b32 exec_lo, exec_lo, s2
	s_waitcnt lgkmcnt(0)
	buffer_gl0_inv
	s_and_saveexec_b32 s0, vcc_lo
	s_cbranch_execz .LBB23_32
; %bb.31:
	ds_load_2addr_b32 v[3:4], v2 offset1:10
	s_waitcnt lgkmcnt(0)
	v_add_f32_e32 v3, v4, v3
	ds_store_b32 v2, v3
.LBB23_32:
	s_or_b32 exec_lo, exec_lo, s0
	s_delay_alu instid0(SALU_CYCLE_1)
	s_mov_b32 s0, exec_lo
	s_waitcnt lgkmcnt(0)
	buffer_gl0_inv
                                        ; implicit-def: $vgpr3
	v_cmpx_gt_u32_e32 5, v0
; %bb.33:
	v_add_nc_u32_e32 v3, 5, v0
	s_or_b32 s1, s1, exec_lo
                                        ; implicit-def: $vgpr8
; %bb.34:
	s_or_b32 exec_lo, exec_lo, s0
	v_mov_b32_e32 v4, v2
.LBB23_35:
	s_and_saveexec_b32 s0, s1
	s_cbranch_execz .LBB23_37
; %bb.36:
	v_lshlrev_b32_e32 v2, 2, v3
	ds_load_b32 v3, v4
	ds_load_b32 v2, v2
	s_waitcnt lgkmcnt(0)
	v_add_f32_e32 v8, v3, v2
.LBB23_37:
	s_or_b32 exec_lo, exec_lo, s0
	s_delay_alu instid0(SALU_CYCLE_1)
	s_mov_b32 s0, exec_lo
	v_cmpx_gt_u32_e32 5, v0
	s_cbranch_execz .LBB23_41
; %bb.38:
	v_cmp_eq_f32_e64 s2, s8, 0
	v_lshlrev_b64 v[0:1], 2, v[0:1]
	v_mul_f32_e32 v2, s12, v8
	s_mov_b32 s1, 0
	s_mul_i32 s0, s11, 20
	s_and_b32 vcc_lo, exec_lo, s2
	s_mul_hi_u32 s2, s10, 20
	s_mul_i32 s3, s10, 20
	s_cbranch_vccz .LBB23_42
; %bb.39:
	s_add_i32 s6, s2, s0
	s_add_u32 s7, s4, s3
	s_addc_u32 s6, s5, s6
	v_add_co_u32 v3, vcc_lo, s7, v0
	v_add_co_ci_u32_e32 v4, vcc_lo, s6, v1, vcc_lo
	global_store_b32 v[3:4], v2, off
	s_and_not1_b32 vcc_lo, exec_lo, s1
	s_cbranch_vccnz .LBB23_41
.LBB23_40:
	s_add_i32 s2, s2, s0
	s_add_u32 s0, s4, s3
	s_addc_u32 s1, s5, s2
	v_add_co_u32 v0, vcc_lo, s0, v0
	v_add_co_ci_u32_e32 v1, vcc_lo, s1, v1, vcc_lo
	global_load_b32 v3, v[0:1], off
	s_waitcnt vmcnt(0)
	v_fmac_f32_e32 v2, s8, v3
	global_store_b32 v[0:1], v2, off
.LBB23_41:
	s_nop 0
	s_sendmsg sendmsg(MSG_DEALLOC_VGPRS)
	s_endpgm
.LBB23_42:
	s_branch .LBB23_40
	.section	.rodata,"a",@progbits
	.p2align	6, 0x0
	.amdhsa_kernel _ZN9rocsparseL18bsrxmvn_5x5_kernelILj50EfllaafEEvT2_20rocsparse_direction_NS_24const_host_device_scalarIT0_EES1_PKS1_PKT1_SA_S7_PKT3_PKT4_S5_PT5_21rocsparse_index_base_b
		.amdhsa_group_segment_fixed_size 200
		.amdhsa_private_segment_fixed_size 0
		.amdhsa_kernarg_size 104
		.amdhsa_user_sgpr_count 15
		.amdhsa_user_sgpr_dispatch_ptr 0
		.amdhsa_user_sgpr_queue_ptr 0
		.amdhsa_user_sgpr_kernarg_segment_ptr 1
		.amdhsa_user_sgpr_dispatch_id 0
		.amdhsa_user_sgpr_private_segment_size 0
		.amdhsa_wavefront_size32 1
		.amdhsa_uses_dynamic_stack 0
		.amdhsa_enable_private_segment 0
		.amdhsa_system_sgpr_workgroup_id_x 1
		.amdhsa_system_sgpr_workgroup_id_y 0
		.amdhsa_system_sgpr_workgroup_id_z 0
		.amdhsa_system_sgpr_workgroup_info 0
		.amdhsa_system_vgpr_workitem_id 0
		.amdhsa_next_free_vgpr 16
		.amdhsa_next_free_sgpr 24
		.amdhsa_reserve_vcc 1
		.amdhsa_float_round_mode_32 0
		.amdhsa_float_round_mode_16_64 0
		.amdhsa_float_denorm_mode_32 3
		.amdhsa_float_denorm_mode_16_64 3
		.amdhsa_dx10_clamp 1
		.amdhsa_ieee_mode 1
		.amdhsa_fp16_overflow 0
		.amdhsa_workgroup_processor_mode 1
		.amdhsa_memory_ordered 1
		.amdhsa_forward_progress 0
		.amdhsa_shared_vgpr_count 0
		.amdhsa_exception_fp_ieee_invalid_op 0
		.amdhsa_exception_fp_denorm_src 0
		.amdhsa_exception_fp_ieee_div_zero 0
		.amdhsa_exception_fp_ieee_overflow 0
		.amdhsa_exception_fp_ieee_underflow 0
		.amdhsa_exception_fp_ieee_inexact 0
		.amdhsa_exception_int_div_zero 0
	.end_amdhsa_kernel
	.section	.text._ZN9rocsparseL18bsrxmvn_5x5_kernelILj50EfllaafEEvT2_20rocsparse_direction_NS_24const_host_device_scalarIT0_EES1_PKS1_PKT1_SA_S7_PKT3_PKT4_S5_PT5_21rocsparse_index_base_b,"axG",@progbits,_ZN9rocsparseL18bsrxmvn_5x5_kernelILj50EfllaafEEvT2_20rocsparse_direction_NS_24const_host_device_scalarIT0_EES1_PKS1_PKT1_SA_S7_PKT3_PKT4_S5_PT5_21rocsparse_index_base_b,comdat
.Lfunc_end23:
	.size	_ZN9rocsparseL18bsrxmvn_5x5_kernelILj50EfllaafEEvT2_20rocsparse_direction_NS_24const_host_device_scalarIT0_EES1_PKS1_PKT1_SA_S7_PKT3_PKT4_S5_PT5_21rocsparse_index_base_b, .Lfunc_end23-_ZN9rocsparseL18bsrxmvn_5x5_kernelILj50EfllaafEEvT2_20rocsparse_direction_NS_24const_host_device_scalarIT0_EES1_PKS1_PKT1_SA_S7_PKT3_PKT4_S5_PT5_21rocsparse_index_base_b
                                        ; -- End function
	.section	.AMDGPU.csdata,"",@progbits
; Kernel info:
; codeLenInByte = 1508
; NumSgprs: 26
; NumVgprs: 16
; ScratchSize: 0
; MemoryBound: 0
; FloatMode: 240
; IeeeMode: 1
; LDSByteSize: 200 bytes/workgroup (compile time only)
; SGPRBlocks: 3
; VGPRBlocks: 1
; NumSGPRsForWavesPerEU: 26
; NumVGPRsForWavesPerEU: 16
; Occupancy: 16
; WaveLimiterHint : 1
; COMPUTE_PGM_RSRC2:SCRATCH_EN: 0
; COMPUTE_PGM_RSRC2:USER_SGPR: 15
; COMPUTE_PGM_RSRC2:TRAP_HANDLER: 0
; COMPUTE_PGM_RSRC2:TGID_X_EN: 1
; COMPUTE_PGM_RSRC2:TGID_Y_EN: 0
; COMPUTE_PGM_RSRC2:TGID_Z_EN: 0
; COMPUTE_PGM_RSRC2:TIDIG_COMP_CNT: 0
	.section	.text._ZN9rocsparseL18bsrxmvn_5x5_kernelILj50EfiiDF16_DF16_fEEvT2_20rocsparse_direction_NS_24const_host_device_scalarIT0_EES1_PKS1_PKT1_SA_S7_PKT3_PKT4_S5_PT5_21rocsparse_index_base_b,"axG",@progbits,_ZN9rocsparseL18bsrxmvn_5x5_kernelILj50EfiiDF16_DF16_fEEvT2_20rocsparse_direction_NS_24const_host_device_scalarIT0_EES1_PKS1_PKT1_SA_S7_PKT3_PKT4_S5_PT5_21rocsparse_index_base_b,comdat
	.globl	_ZN9rocsparseL18bsrxmvn_5x5_kernelILj50EfiiDF16_DF16_fEEvT2_20rocsparse_direction_NS_24const_host_device_scalarIT0_EES1_PKS1_PKT1_SA_S7_PKT3_PKT4_S5_PT5_21rocsparse_index_base_b ; -- Begin function _ZN9rocsparseL18bsrxmvn_5x5_kernelILj50EfiiDF16_DF16_fEEvT2_20rocsparse_direction_NS_24const_host_device_scalarIT0_EES1_PKS1_PKT1_SA_S7_PKT3_PKT4_S5_PT5_21rocsparse_index_base_b
	.p2align	8
	.type	_ZN9rocsparseL18bsrxmvn_5x5_kernelILj50EfiiDF16_DF16_fEEvT2_20rocsparse_direction_NS_24const_host_device_scalarIT0_EES1_PKS1_PKT1_SA_S7_PKT3_PKT4_S5_PT5_21rocsparse_index_base_b,@function
_ZN9rocsparseL18bsrxmvn_5x5_kernelILj50EfiiDF16_DF16_fEEvT2_20rocsparse_direction_NS_24const_host_device_scalarIT0_EES1_PKS1_PKT1_SA_S7_PKT3_PKT4_S5_PT5_21rocsparse_index_base_b: ; @_ZN9rocsparseL18bsrxmvn_5x5_kernelILj50EfiiDF16_DF16_fEEvT2_20rocsparse_direction_NS_24const_host_device_scalarIT0_EES1_PKS1_PKT1_SA_S7_PKT3_PKT4_S5_PT5_21rocsparse_index_base_b
; %bb.0:
	s_mov_b32 s8, s15
	s_clause 0x2
	s_load_b64 s[14:15], s[0:1], 0x58
	s_load_b64 s[10:11], s[0:1], 0x8
	s_load_b64 s[2:3], s[0:1], 0x48
	s_waitcnt lgkmcnt(0)
	s_bitcmp1_b32 s15, 0
	s_cselect_b32 s4, -1, 0
	s_delay_alu instid0(SALU_CYCLE_1)
	s_and_b32 vcc_lo, exec_lo, s4
	s_xor_b32 s4, s4, -1
	s_cbranch_vccnz .LBB24_2
; %bb.1:
	s_load_b32 s10, s[10:11], 0x0
.LBB24_2:
	s_and_not1_b32 vcc_lo, exec_lo, s4
	s_cbranch_vccnz .LBB24_4
; %bb.3:
	s_load_b32 s2, s[2:3], 0x0
.LBB24_4:
	s_waitcnt lgkmcnt(0)
	v_cmp_neq_f32_e64 s3, s10, 0
	v_cmp_neq_f32_e64 s4, s2, 1.0
	s_delay_alu instid0(VALU_DEP_1) | instskip(NEXT) | instid1(SALU_CYCLE_1)
	s_or_b32 s3, s3, s4
	s_and_not1_b32 vcc_lo, exec_lo, s3
	s_cbranch_vccnz .LBB24_38
; %bb.5:
	s_clause 0x1
	s_load_b128 s[4:7], s[0:1], 0x18
	s_load_b64 s[12:13], s[0:1], 0x28
	s_waitcnt lgkmcnt(0)
	s_cmp_eq_u64 s[4:5], 0
	s_cbranch_scc1 .LBB24_7
; %bb.6:
	s_ashr_i32 s9, s8, 31
	s_delay_alu instid0(SALU_CYCLE_1) | instskip(NEXT) | instid1(SALU_CYCLE_1)
	s_lshl_b64 s[8:9], s[8:9], 2
	s_add_u32 s4, s4, s8
	s_addc_u32 s5, s5, s9
	s_load_b32 s3, s[4:5], 0x0
	s_waitcnt lgkmcnt(0)
	s_sub_i32 s8, s3, s14
.LBB24_7:
	s_load_b32 s3, s[0:1], 0x4
	v_mul_u32_u24_e32 v1, 0x3334, v0
	v_mov_b32_e32 v6, 0
	s_delay_alu instid0(VALU_DEP_2) | instskip(NEXT) | instid1(VALU_DEP_1)
	v_lshrrev_b32_e32 v1, 16, v1
	v_mul_lo_u16 v2, v1, 5
	s_delay_alu instid0(VALU_DEP_1)
	v_sub_nc_u16 v7, v0, v2
	s_waitcnt lgkmcnt(0)
	s_cmp_eq_u32 s3, 1
	s_cselect_b32 vcc_lo, -1, 0
	s_cmp_lg_u32 s3, 1
	s_cselect_b32 s3, -1, 0
	s_ashr_i32 s9, s8, 31
	s_delay_alu instid0(SALU_CYCLE_1) | instskip(NEXT) | instid1(SALU_CYCLE_1)
	s_lshl_b64 s[4:5], s[8:9], 2
	s_add_u32 s6, s6, s4
	s_addc_u32 s7, s7, s5
	s_add_u32 s9, s6, 4
	s_addc_u32 s11, s7, 0
	;; [unrolled: 2-line block ×3, first 2 shown]
	s_cmp_eq_u64 s[12:13], 0
	s_load_b64 s[12:13], s[0:1], 0x50
	s_cselect_b32 s5, s11, s5
	s_cselect_b32 s4, s9, s4
	s_load_b32 s11, s[6:7], 0x0
	s_load_b32 s9, s[4:5], 0x0
	s_waitcnt lgkmcnt(0)
	s_cmp_ge_i32 s11, s9
	s_cbranch_scc1 .LBB24_12
; %bb.8:
	v_mul_lo_u16 v2, v1, 52
	s_clause 0x1
	s_load_b128 s[4:7], s[0:1], 0x30
	s_load_b64 s[0:1], s[0:1], 0x40
	v_and_b32_e32 v5, 0xffff, v0
	v_mad_u64_u32 v[3:4], null, s11, 25, v[0:1]
	v_lshrrev_b16 v2, 8, v2
	v_and_b32_e32 v4, 0xffff, v7
	s_mul_i32 s15, s14, 25
	s_sub_i32 s9, s9, s14
	s_sub_i32 s11, s11, s14
	v_mul_lo_u16 v2, v2, 5
	s_delay_alu instid0(VALU_DEP_1) | instskip(SKIP_2) | instid1(VALU_DEP_3)
	v_sub_nc_u16 v1, v1, v2
	v_mov_b32_e32 v2, 0
	v_mul_u32_u24_e32 v5, 0xa3e, v5
	v_and_b32_e32 v6, 0xff, v1
	v_subrev_nc_u32_e32 v1, s15, v3
	s_delay_alu instid0(VALU_DEP_3) | instskip(NEXT) | instid1(VALU_DEP_3)
	v_lshrrev_b32_e32 v8, 16, v5
	v_dual_cndmask_b32 v3, v4, v6 :: v_dual_mov_b32 v6, v2
	s_set_inst_prefetch_distance 0x1
	s_branch .LBB24_10
	.p2align	6
.LBB24_9:                               ;   in Loop: Header=BB24_10 Depth=1
	s_or_b32 exec_lo, exec_lo, s15
	v_add_nc_u32_e32 v1, 50, v1
	s_add_i32 s11, s11, 2
	s_delay_alu instid0(SALU_CYCLE_1)
	s_cmp_ge_i32 s11, s9
	s_cbranch_scc1 .LBB24_12
.LBB24_10:                              ; =>This Inner Loop Header: Depth=1
	s_delay_alu instid0(VALU_DEP_2) | instskip(SKIP_1) | instid1(VALU_DEP_1)
	v_add_nc_u32_e32 v4, s11, v8
	s_mov_b32 s15, exec_lo
	v_cmpx_gt_i32_e64 s9, v4
	s_cbranch_execz .LBB24_9
; %bb.11:                               ;   in Loop: Header=BB24_10 Depth=1
	v_ashrrev_i32_e32 v5, 31, v4
	s_delay_alu instid0(VALU_DEP_1) | instskip(SKIP_1) | instid1(VALU_DEP_1)
	v_lshlrev_b64 v[4:5], 2, v[4:5]
	s_waitcnt lgkmcnt(0)
	v_add_co_u32 v4, vcc_lo, s4, v4
	s_delay_alu instid0(VALU_DEP_2) | instskip(SKIP_3) | instid1(VALU_DEP_1)
	v_add_co_ci_u32_e32 v5, vcc_lo, s5, v5, vcc_lo
	global_load_b32 v4, v[4:5], off
	s_waitcnt vmcnt(0)
	v_subrev_nc_u32_e32 v9, s14, v4
	v_mad_u64_u32 v[4:5], null, v9, 5, v[3:4]
	v_lshlrev_b64 v[9:10], 1, v[1:2]
	s_delay_alu instid0(VALU_DEP_1) | instskip(NEXT) | instid1(VALU_DEP_3)
	v_add_co_u32 v9, vcc_lo, s6, v9
	v_ashrrev_i32_e32 v5, 31, v4
	s_delay_alu instid0(VALU_DEP_3) | instskip(NEXT) | instid1(VALU_DEP_2)
	v_add_co_ci_u32_e32 v10, vcc_lo, s7, v10, vcc_lo
	v_lshlrev_b64 v[4:5], 1, v[4:5]
	s_delay_alu instid0(VALU_DEP_1) | instskip(NEXT) | instid1(VALU_DEP_2)
	v_add_co_u32 v4, vcc_lo, s0, v4
	v_add_co_ci_u32_e32 v5, vcc_lo, s1, v5, vcc_lo
	global_load_u16 v9, v[9:10], off
	global_load_u16 v4, v[4:5], off
	s_waitcnt vmcnt(0)
	v_fma_mix_f32 v6, v9, v4, v6 op_sel_hi:[1,1,0]
	s_branch .LBB24_9
.LBB24_12:
	s_set_inst_prefetch_distance 0x2
	v_lshlrev_b32_e32 v1, 2, v0
	s_and_b32 vcc_lo, exec_lo, s3
	ds_store_b32 v1, v6
	s_waitcnt lgkmcnt(0)
	buffer_gl0_inv
	s_cbranch_vccz .LBB24_22
; %bb.13:
	s_mov_b32 s0, exec_lo
	v_cmpx_gt_u32_e32 25, v0
	s_cbranch_execz .LBB24_15
; %bb.14:
	ds_load_2addr_b32 v[2:3], v1 offset1:25
	s_waitcnt lgkmcnt(0)
	v_add_f32_e32 v2, v3, v2
	ds_store_b32 v1, v2
.LBB24_15:
	s_or_b32 exec_lo, exec_lo, s0
	s_delay_alu instid0(SALU_CYCLE_1)
	s_mov_b32 s0, exec_lo
	s_waitcnt lgkmcnt(0)
	buffer_gl0_inv
	v_cmpx_eq_u16_e32 0, v7
	s_cbranch_execz .LBB24_17
; %bb.16:
	ds_load_2addr_b32 v[2:3], v1 offset1:4
	s_waitcnt lgkmcnt(0)
	v_add_f32_e32 v2, v3, v2
	ds_store_b32 v1, v2
.LBB24_17:
	s_or_b32 exec_lo, exec_lo, s0
	s_delay_alu instid0(SALU_CYCLE_1)
	s_mov_b32 s0, exec_lo
	s_waitcnt lgkmcnt(0)
	buffer_gl0_inv
	v_cmpx_gt_u16_e32 2, v7
	s_cbranch_execz .LBB24_19
; %bb.18:
	ds_load_2addr_b32 v[2:3], v1 offset1:2
	s_waitcnt lgkmcnt(0)
	v_add_f32_e32 v2, v3, v2
	ds_store_b32 v1, v2
.LBB24_19:
	s_or_b32 exec_lo, exec_lo, s0
	s_mov_b32 s0, 0
	s_mov_b32 s1, 0
	s_mov_b32 s3, exec_lo
	s_waitcnt lgkmcnt(0)
	buffer_gl0_inv
                                        ; implicit-def: $vgpr2
                                        ; implicit-def: $vgpr3
	v_cmpx_gt_u32_e32 5, v0
	s_xor_b32 s3, exec_lo, s3
; %bb.20:
	v_mad_u32_u24 v2, v0, 5, 1
	v_lshl_add_u32 v3, v0, 4, v1
	s_mov_b32 s1, exec_lo
; %bb.21:
	s_or_b32 exec_lo, exec_lo, s3
	s_delay_alu instid0(SALU_CYCLE_1)
	s_and_b32 vcc_lo, exec_lo, s0
	s_cbranch_vccnz .LBB24_23
	s_branch .LBB24_32
.LBB24_22:
	s_mov_b32 s1, 0
                                        ; implicit-def: $vgpr2
                                        ; implicit-def: $vgpr3
	s_cbranch_execz .LBB24_32
.LBB24_23:
	v_cmp_gt_u32_e32 vcc_lo, 10, v0
	s_and_saveexec_b32 s0, vcc_lo
	s_cbranch_execz .LBB24_25
; %bb.24:
	ds_load_2addr_b32 v[2:3], v1 offset1:40
	s_waitcnt lgkmcnt(0)
	v_add_f32_e32 v2, v3, v2
	ds_store_b32 v1, v2
.LBB24_25:
	s_or_b32 exec_lo, exec_lo, s0
	s_delay_alu instid0(SALU_CYCLE_1)
	s_mov_b32 s3, exec_lo
	s_waitcnt lgkmcnt(0)
	buffer_gl0_inv
	v_cmpx_gt_u32_e32 20, v0
	s_cbranch_execz .LBB24_27
; %bb.26:
	ds_load_2addr_b32 v[2:3], v1 offset1:20
	s_waitcnt lgkmcnt(0)
	v_add_f32_e32 v2, v3, v2
	ds_store_b32 v1, v2
.LBB24_27:
	s_or_b32 exec_lo, exec_lo, s3
	s_waitcnt lgkmcnt(0)
	buffer_gl0_inv
	s_and_saveexec_b32 s0, vcc_lo
	s_cbranch_execz .LBB24_29
; %bb.28:
	ds_load_2addr_b32 v[2:3], v1 offset1:10
	s_waitcnt lgkmcnt(0)
	v_add_f32_e32 v2, v3, v2
	ds_store_b32 v1, v2
.LBB24_29:
	s_or_b32 exec_lo, exec_lo, s0
	s_delay_alu instid0(SALU_CYCLE_1)
	s_mov_b32 s0, exec_lo
	s_waitcnt lgkmcnt(0)
	buffer_gl0_inv
                                        ; implicit-def: $vgpr2
	v_cmpx_gt_u32_e32 5, v0
; %bb.30:
	v_add_nc_u32_e32 v2, 5, v0
	s_or_b32 s1, s1, exec_lo
                                        ; implicit-def: $vgpr6
; %bb.31:
	s_or_b32 exec_lo, exec_lo, s0
	v_mov_b32_e32 v3, v1
.LBB24_32:
	s_and_saveexec_b32 s0, s1
	s_cbranch_execz .LBB24_34
; %bb.33:
	v_lshlrev_b32_e32 v1, 2, v2
	ds_load_b32 v2, v3
	ds_load_b32 v1, v1
	s_waitcnt lgkmcnt(0)
	v_add_f32_e32 v6, v2, v1
.LBB24_34:
	s_or_b32 exec_lo, exec_lo, s0
	s_delay_alu instid0(SALU_CYCLE_1)
	s_mov_b32 s0, exec_lo
	v_cmpx_gt_u32_e32 5, v0
	s_cbranch_execz .LBB24_38
; %bb.35:
	v_cmp_eq_f32_e64 s0, s2, 0
	v_mul_f32_e32 v1, s10, v6
	s_delay_alu instid0(VALU_DEP_2)
	s_and_b32 vcc_lo, exec_lo, s0
	s_mov_b32 s0, 0
	s_cbranch_vccz .LBB24_39
; %bb.36:
	s_delay_alu instid0(VALU_DEP_1) | instskip(SKIP_1) | instid1(VALU_DEP_1)
	v_mad_u64_u32 v[2:3], null, s8, 5, v[0:1]
	v_mov_b32_e32 v3, 0
	v_lshlrev_b64 v[2:3], 2, v[2:3]
	s_delay_alu instid0(VALU_DEP_1) | instskip(NEXT) | instid1(VALU_DEP_2)
	v_add_co_u32 v2, vcc_lo, s12, v2
	v_add_co_ci_u32_e32 v3, vcc_lo, s13, v3, vcc_lo
	global_store_b32 v[2:3], v1, off
	s_and_not1_b32 vcc_lo, exec_lo, s0
	s_cbranch_vccnz .LBB24_38
.LBB24_37:
	v_mad_u64_u32 v[2:3], null, s8, 5, v[0:1]
	v_mov_b32_e32 v3, 0
	s_delay_alu instid0(VALU_DEP_1) | instskip(NEXT) | instid1(VALU_DEP_1)
	v_lshlrev_b64 v[2:3], 2, v[2:3]
	v_add_co_u32 v2, vcc_lo, s12, v2
	s_delay_alu instid0(VALU_DEP_2)
	v_add_co_ci_u32_e32 v3, vcc_lo, s13, v3, vcc_lo
	global_load_b32 v0, v[2:3], off
	s_waitcnt vmcnt(0)
	v_fmac_f32_e32 v1, s2, v0
	global_store_b32 v[2:3], v1, off
.LBB24_38:
	s_nop 0
	s_sendmsg sendmsg(MSG_DEALLOC_VGPRS)
	s_endpgm
.LBB24_39:
	s_branch .LBB24_37
	.section	.rodata,"a",@progbits
	.p2align	6, 0x0
	.amdhsa_kernel _ZN9rocsparseL18bsrxmvn_5x5_kernelILj50EfiiDF16_DF16_fEEvT2_20rocsparse_direction_NS_24const_host_device_scalarIT0_EES1_PKS1_PKT1_SA_S7_PKT3_PKT4_S5_PT5_21rocsparse_index_base_b
		.amdhsa_group_segment_fixed_size 200
		.amdhsa_private_segment_fixed_size 0
		.amdhsa_kernarg_size 96
		.amdhsa_user_sgpr_count 15
		.amdhsa_user_sgpr_dispatch_ptr 0
		.amdhsa_user_sgpr_queue_ptr 0
		.amdhsa_user_sgpr_kernarg_segment_ptr 1
		.amdhsa_user_sgpr_dispatch_id 0
		.amdhsa_user_sgpr_private_segment_size 0
		.amdhsa_wavefront_size32 1
		.amdhsa_uses_dynamic_stack 0
		.amdhsa_enable_private_segment 0
		.amdhsa_system_sgpr_workgroup_id_x 1
		.amdhsa_system_sgpr_workgroup_id_y 0
		.amdhsa_system_sgpr_workgroup_id_z 0
		.amdhsa_system_sgpr_workgroup_info 0
		.amdhsa_system_vgpr_workitem_id 0
		.amdhsa_next_free_vgpr 11
		.amdhsa_next_free_sgpr 16
		.amdhsa_reserve_vcc 1
		.amdhsa_float_round_mode_32 0
		.amdhsa_float_round_mode_16_64 0
		.amdhsa_float_denorm_mode_32 3
		.amdhsa_float_denorm_mode_16_64 3
		.amdhsa_dx10_clamp 1
		.amdhsa_ieee_mode 1
		.amdhsa_fp16_overflow 0
		.amdhsa_workgroup_processor_mode 1
		.amdhsa_memory_ordered 1
		.amdhsa_forward_progress 0
		.amdhsa_shared_vgpr_count 0
		.amdhsa_exception_fp_ieee_invalid_op 0
		.amdhsa_exception_fp_denorm_src 0
		.amdhsa_exception_fp_ieee_div_zero 0
		.amdhsa_exception_fp_ieee_overflow 0
		.amdhsa_exception_fp_ieee_underflow 0
		.amdhsa_exception_fp_ieee_inexact 0
		.amdhsa_exception_int_div_zero 0
	.end_amdhsa_kernel
	.section	.text._ZN9rocsparseL18bsrxmvn_5x5_kernelILj50EfiiDF16_DF16_fEEvT2_20rocsparse_direction_NS_24const_host_device_scalarIT0_EES1_PKS1_PKT1_SA_S7_PKT3_PKT4_S5_PT5_21rocsparse_index_base_b,"axG",@progbits,_ZN9rocsparseL18bsrxmvn_5x5_kernelILj50EfiiDF16_DF16_fEEvT2_20rocsparse_direction_NS_24const_host_device_scalarIT0_EES1_PKS1_PKT1_SA_S7_PKT3_PKT4_S5_PT5_21rocsparse_index_base_b,comdat
.Lfunc_end24:
	.size	_ZN9rocsparseL18bsrxmvn_5x5_kernelILj50EfiiDF16_DF16_fEEvT2_20rocsparse_direction_NS_24const_host_device_scalarIT0_EES1_PKS1_PKT1_SA_S7_PKT3_PKT4_S5_PT5_21rocsparse_index_base_b, .Lfunc_end24-_ZN9rocsparseL18bsrxmvn_5x5_kernelILj50EfiiDF16_DF16_fEEvT2_20rocsparse_direction_NS_24const_host_device_scalarIT0_EES1_PKS1_PKT1_SA_S7_PKT3_PKT4_S5_PT5_21rocsparse_index_base_b
                                        ; -- End function
	.section	.AMDGPU.csdata,"",@progbits
; Kernel info:
; codeLenInByte = 1348
; NumSgprs: 18
; NumVgprs: 11
; ScratchSize: 0
; MemoryBound: 0
; FloatMode: 240
; IeeeMode: 1
; LDSByteSize: 200 bytes/workgroup (compile time only)
; SGPRBlocks: 2
; VGPRBlocks: 1
; NumSGPRsForWavesPerEU: 18
; NumVGPRsForWavesPerEU: 11
; Occupancy: 16
; WaveLimiterHint : 1
; COMPUTE_PGM_RSRC2:SCRATCH_EN: 0
; COMPUTE_PGM_RSRC2:USER_SGPR: 15
; COMPUTE_PGM_RSRC2:TRAP_HANDLER: 0
; COMPUTE_PGM_RSRC2:TGID_X_EN: 1
; COMPUTE_PGM_RSRC2:TGID_Y_EN: 0
; COMPUTE_PGM_RSRC2:TGID_Z_EN: 0
; COMPUTE_PGM_RSRC2:TIDIG_COMP_CNT: 0
	.section	.text._ZN9rocsparseL18bsrxmvn_5x5_kernelILj50EfliDF16_DF16_fEEvT2_20rocsparse_direction_NS_24const_host_device_scalarIT0_EES1_PKS1_PKT1_SA_S7_PKT3_PKT4_S5_PT5_21rocsparse_index_base_b,"axG",@progbits,_ZN9rocsparseL18bsrxmvn_5x5_kernelILj50EfliDF16_DF16_fEEvT2_20rocsparse_direction_NS_24const_host_device_scalarIT0_EES1_PKS1_PKT1_SA_S7_PKT3_PKT4_S5_PT5_21rocsparse_index_base_b,comdat
	.globl	_ZN9rocsparseL18bsrxmvn_5x5_kernelILj50EfliDF16_DF16_fEEvT2_20rocsparse_direction_NS_24const_host_device_scalarIT0_EES1_PKS1_PKT1_SA_S7_PKT3_PKT4_S5_PT5_21rocsparse_index_base_b ; -- Begin function _ZN9rocsparseL18bsrxmvn_5x5_kernelILj50EfliDF16_DF16_fEEvT2_20rocsparse_direction_NS_24const_host_device_scalarIT0_EES1_PKS1_PKT1_SA_S7_PKT3_PKT4_S5_PT5_21rocsparse_index_base_b
	.p2align	8
	.type	_ZN9rocsparseL18bsrxmvn_5x5_kernelILj50EfliDF16_DF16_fEEvT2_20rocsparse_direction_NS_24const_host_device_scalarIT0_EES1_PKS1_PKT1_SA_S7_PKT3_PKT4_S5_PT5_21rocsparse_index_base_b,@function
_ZN9rocsparseL18bsrxmvn_5x5_kernelILj50EfliDF16_DF16_fEEvT2_20rocsparse_direction_NS_24const_host_device_scalarIT0_EES1_PKS1_PKT1_SA_S7_PKT3_PKT4_S5_PT5_21rocsparse_index_base_b: ; @_ZN9rocsparseL18bsrxmvn_5x5_kernelILj50EfliDF16_DF16_fEEvT2_20rocsparse_direction_NS_24const_host_device_scalarIT0_EES1_PKS1_PKT1_SA_S7_PKT3_PKT4_S5_PT5_21rocsparse_index_base_b
; %bb.0:
	s_mov_b32 s10, s15
	s_clause 0x2
	s_load_b64 s[14:15], s[0:1], 0x58
	s_load_b64 s[12:13], s[0:1], 0x8
	;; [unrolled: 1-line block ×3, first 2 shown]
	s_waitcnt lgkmcnt(0)
	s_bitcmp1_b32 s15, 0
	s_cselect_b32 s2, -1, 0
	s_delay_alu instid0(SALU_CYCLE_1)
	s_and_b32 vcc_lo, exec_lo, s2
	s_xor_b32 s2, s2, -1
	s_cbranch_vccnz .LBB25_2
; %bb.1:
	s_load_b32 s12, s[12:13], 0x0
.LBB25_2:
	s_and_not1_b32 vcc_lo, exec_lo, s2
	s_cbranch_vccnz .LBB25_4
; %bb.3:
	s_load_b32 s8, s[8:9], 0x0
.LBB25_4:
	s_waitcnt lgkmcnt(0)
	v_cmp_neq_f32_e64 s2, s12, 0
	v_cmp_neq_f32_e64 s3, s8, 1.0
	s_delay_alu instid0(VALU_DEP_1) | instskip(NEXT) | instid1(SALU_CYCLE_1)
	s_or_b32 s2, s2, s3
	s_and_not1_b32 vcc_lo, exec_lo, s2
	s_cbranch_vccnz .LBB25_38
; %bb.5:
	s_clause 0x1
	s_load_b128 s[4:7], s[0:1], 0x18
	s_load_b64 s[16:17], s[0:1], 0x28
	s_waitcnt lgkmcnt(0)
	s_cmp_eq_u64 s[4:5], 0
	s_cbranch_scc1 .LBB25_7
; %bb.6:
	s_ashr_i32 s11, s10, 31
	s_delay_alu instid0(SALU_CYCLE_1) | instskip(NEXT) | instid1(SALU_CYCLE_1)
	s_lshl_b64 s[2:3], s[10:11], 2
	s_add_u32 s2, s4, s2
	s_addc_u32 s3, s5, s3
	s_load_b32 s2, s[2:3], 0x0
	s_waitcnt lgkmcnt(0)
	s_sub_i32 s10, s2, s14
.LBB25_7:
	s_load_b32 s3, s[0:1], 0x4
	v_mul_u32_u24_e32 v1, 0x3334, v0
	v_mov_b32_e32 v2, 0
	s_delay_alu instid0(VALU_DEP_2) | instskip(NEXT) | instid1(VALU_DEP_1)
	v_lshrrev_b32_e32 v3, 16, v1
	v_mul_lo_u16 v1, v3, 5
	s_delay_alu instid0(VALU_DEP_1)
	v_sub_nc_u16 v7, v0, v1
	s_waitcnt lgkmcnt(0)
	s_cmp_eq_u32 s3, 1
	s_cselect_b32 s2, -1, 0
	s_cmp_lg_u32 s3, 1
	s_cselect_b32 s9, -1, 0
	s_ashr_i32 s11, s10, 31
	s_delay_alu instid0(SALU_CYCLE_1) | instskip(NEXT) | instid1(SALU_CYCLE_1)
	s_lshl_b64 s[4:5], s[10:11], 3
	s_add_u32 s6, s6, s4
	s_addc_u32 s7, s7, s5
	s_add_u32 s3, s6, 8
	s_addc_u32 s11, s7, 0
	;; [unrolled: 2-line block ×3, first 2 shown]
	s_cmp_eq_u64 s[16:17], 0
	s_cselect_b32 s5, s11, s5
	s_cselect_b32 s4, s3, s4
	s_load_b64 s[16:17], s[6:7], 0x0
	s_load_b64 s[6:7], s[4:5], 0x0
	;; [unrolled: 1-line block ×3, first 2 shown]
	s_waitcnt lgkmcnt(0)
	v_cmp_ge_i64_e64 s3, s[16:17], s[6:7]
	s_delay_alu instid0(VALU_DEP_1)
	s_and_b32 vcc_lo, exec_lo, s3
	s_cbranch_vccnz .LBB25_12
; %bb.8:
	v_mul_lo_u16 v4, v3, 52
	v_dual_mov_b32 v2, 0 :: v_dual_lshlrev_b32 v1, 1, v0
	s_clause 0x1
	s_load_b128 s[20:23], s[0:1], 0x30
	s_load_b64 s[0:1], s[0:1], 0x40
	v_and_b32_e32 v9, 0xffff, v7
	v_lshrrev_b16 v6, 8, v4
	s_mul_i32 s11, s14, 50
	v_mad_u64_u32 v[4:5], null, s16, 50, v[1:2]
	v_and_b32_e32 v1, 0xffff, v0
	s_delay_alu instid0(VALU_DEP_3) | instskip(SKIP_4) | instid1(VALU_DEP_4)
	v_mul_lo_u16 v6, v6, 5
	s_mul_hi_u32 s3, s14, 50
	s_sub_u32 s6, s6, s14
	s_subb_u32 s7, s7, 0
	v_mul_u32_u24_e32 v8, 0xa3e, v1
	v_mov_b32_e32 v1, v5
	v_sub_nc_u16 v3, v3, v6
	s_delay_alu instid0(VALU_DEP_3) | instskip(NEXT) | instid1(VALU_DEP_3)
	v_lshrrev_b32_e32 v8, 16, v8
	v_mad_u64_u32 v[5:6], null, s17, 50, v[1:2]
	s_delay_alu instid0(VALU_DEP_3) | instskip(NEXT) | instid1(VALU_DEP_3)
	v_and_b32_e32 v1, 0xff, v3
	v_add_co_u32 v3, s13, s16, v8
	s_delay_alu instid0(VALU_DEP_1) | instskip(NEXT) | instid1(VALU_DEP_3)
	v_add_co_ci_u32_e64 v6, null, s17, 0, s13
	v_cndmask_b32_e64 v1, v9, v1, s2
	v_mov_b32_e32 v9, v5
	s_delay_alu instid0(VALU_DEP_4) | instskip(NEXT) | instid1(VALU_DEP_4)
	v_sub_co_u32 v5, vcc_lo, v3, s14
	v_subrev_co_ci_u32_e32 v6, vcc_lo, 0, v6, vcc_lo
	v_sub_co_u32 v3, vcc_lo, v4, s11
	s_delay_alu instid0(VALU_DEP_4) | instskip(NEXT) | instid1(VALU_DEP_3)
	v_subrev_co_ci_u32_e32 v4, vcc_lo, s3, v9, vcc_lo
	v_lshlrev_b64 v[5:6], 2, v[5:6]
	s_waitcnt lgkmcnt(0)
	s_delay_alu instid0(VALU_DEP_3) | instskip(NEXT) | instid1(VALU_DEP_3)
	v_add_co_u32 v3, vcc_lo, s22, v3
	v_add_co_ci_u32_e32 v4, vcc_lo, s23, v4, vcc_lo
	s_sub_u32 s2, s16, s14
	s_delay_alu instid0(VALU_DEP_3)
	v_add_co_u32 v5, vcc_lo, s20, v5
	v_add_co_ci_u32_e32 v6, vcc_lo, s21, v6, vcc_lo
	s_subb_u32 s3, s17, 0
	s_set_inst_prefetch_distance 0x1
	s_branch .LBB25_10
	.p2align	6
.LBB25_9:                               ;   in Loop: Header=BB25_10 Depth=1
	s_or_b32 exec_lo, exec_lo, s11
	s_add_u32 s2, s2, 2
	s_addc_u32 s3, s3, 0
	v_add_co_u32 v3, vcc_lo, 0x64, v3
	v_cmp_ge_i64_e64 s11, s[2:3], s[6:7]
	v_add_co_ci_u32_e32 v4, vcc_lo, 0, v4, vcc_lo
	v_add_co_u32 v5, vcc_lo, v5, 8
	v_add_co_ci_u32_e32 v6, vcc_lo, 0, v6, vcc_lo
	s_delay_alu instid0(VALU_DEP_4)
	s_and_b32 vcc_lo, exec_lo, s11
	s_cbranch_vccnz .LBB25_12
.LBB25_10:                              ; =>This Inner Loop Header: Depth=1
	v_add_co_u32 v9, s11, v8, s2
	s_delay_alu instid0(VALU_DEP_1) | instskip(SKIP_1) | instid1(VALU_DEP_1)
	v_add_co_ci_u32_e64 v10, null, 0, s3, s11
	s_mov_b32 s11, exec_lo
	v_cmpx_gt_i64_e64 s[6:7], v[9:10]
	s_cbranch_execz .LBB25_9
; %bb.11:                               ;   in Loop: Header=BB25_10 Depth=1
	global_load_b32 v9, v[5:6], off
	s_waitcnt vmcnt(0)
	v_subrev_nc_u32_e32 v11, s14, v9
	s_delay_alu instid0(VALU_DEP_1) | instskip(NEXT) | instid1(VALU_DEP_1)
	v_mad_u64_u32 v[9:10], null, v11, 5, v[1:2]
	v_ashrrev_i32_e32 v10, 31, v9
	s_delay_alu instid0(VALU_DEP_1) | instskip(NEXT) | instid1(VALU_DEP_1)
	v_lshlrev_b64 v[9:10], 1, v[9:10]
	v_add_co_u32 v9, vcc_lo, s0, v9
	s_delay_alu instid0(VALU_DEP_2)
	v_add_co_ci_u32_e32 v10, vcc_lo, s1, v10, vcc_lo
	global_load_u16 v11, v[3:4], off
	global_load_u16 v9, v[9:10], off
	s_waitcnt vmcnt(0)
	v_fma_mix_f32 v2, v11, v9, v2 op_sel_hi:[1,1,0]
	s_branch .LBB25_9
.LBB25_12:
	s_set_inst_prefetch_distance 0x2
	v_lshlrev_b32_e32 v1, 2, v0
	s_and_b32 vcc_lo, exec_lo, s9
	ds_store_b32 v1, v2
	s_waitcnt lgkmcnt(0)
	buffer_gl0_inv
	s_cbranch_vccz .LBB25_22
; %bb.13:
	s_mov_b32 s0, exec_lo
	v_cmpx_gt_u32_e32 25, v0
	s_cbranch_execz .LBB25_15
; %bb.14:
	ds_load_2addr_b32 v[3:4], v1 offset1:25
	s_waitcnt lgkmcnt(0)
	v_add_f32_e32 v3, v4, v3
	ds_store_b32 v1, v3
.LBB25_15:
	s_or_b32 exec_lo, exec_lo, s0
	s_delay_alu instid0(SALU_CYCLE_1)
	s_mov_b32 s0, exec_lo
	s_waitcnt lgkmcnt(0)
	buffer_gl0_inv
	v_cmpx_eq_u16_e32 0, v7
	s_cbranch_execz .LBB25_17
; %bb.16:
	ds_load_2addr_b32 v[3:4], v1 offset1:4
	s_waitcnt lgkmcnt(0)
	v_add_f32_e32 v3, v4, v3
	ds_store_b32 v1, v3
.LBB25_17:
	s_or_b32 exec_lo, exec_lo, s0
	s_delay_alu instid0(SALU_CYCLE_1)
	s_mov_b32 s0, exec_lo
	s_waitcnt lgkmcnt(0)
	buffer_gl0_inv
	v_cmpx_gt_u16_e32 2, v7
	s_cbranch_execz .LBB25_19
; %bb.18:
	ds_load_2addr_b32 v[3:4], v1 offset1:2
	s_waitcnt lgkmcnt(0)
	v_add_f32_e32 v3, v4, v3
	ds_store_b32 v1, v3
.LBB25_19:
	s_or_b32 exec_lo, exec_lo, s0
	s_mov_b32 s0, 0
	s_mov_b32 s1, 0
	s_mov_b32 s2, exec_lo
	s_waitcnt lgkmcnt(0)
	buffer_gl0_inv
                                        ; implicit-def: $vgpr3
                                        ; implicit-def: $vgpr4
	v_cmpx_gt_u32_e32 5, v0
	s_xor_b32 s2, exec_lo, s2
; %bb.20:
	v_mad_u32_u24 v3, v0, 5, 1
	v_lshl_add_u32 v4, v0, 4, v1
	s_mov_b32 s1, exec_lo
; %bb.21:
	s_or_b32 exec_lo, exec_lo, s2
	s_delay_alu instid0(SALU_CYCLE_1)
	s_and_b32 vcc_lo, exec_lo, s0
	s_cbranch_vccnz .LBB25_23
	s_branch .LBB25_32
.LBB25_22:
	s_mov_b32 s1, 0
                                        ; implicit-def: $vgpr3
                                        ; implicit-def: $vgpr4
	s_cbranch_execz .LBB25_32
.LBB25_23:
	v_cmp_gt_u32_e32 vcc_lo, 10, v0
	s_and_saveexec_b32 s0, vcc_lo
	s_cbranch_execz .LBB25_25
; %bb.24:
	ds_load_2addr_b32 v[3:4], v1 offset1:40
	s_waitcnt lgkmcnt(0)
	v_add_f32_e32 v3, v4, v3
	ds_store_b32 v1, v3
.LBB25_25:
	s_or_b32 exec_lo, exec_lo, s0
	s_delay_alu instid0(SALU_CYCLE_1)
	s_mov_b32 s2, exec_lo
	s_waitcnt lgkmcnt(0)
	buffer_gl0_inv
	v_cmpx_gt_u32_e32 20, v0
	s_cbranch_execz .LBB25_27
; %bb.26:
	ds_load_2addr_b32 v[3:4], v1 offset1:20
	s_waitcnt lgkmcnt(0)
	v_add_f32_e32 v3, v4, v3
	ds_store_b32 v1, v3
.LBB25_27:
	s_or_b32 exec_lo, exec_lo, s2
	s_waitcnt lgkmcnt(0)
	buffer_gl0_inv
	s_and_saveexec_b32 s0, vcc_lo
	s_cbranch_execz .LBB25_29
; %bb.28:
	ds_load_2addr_b32 v[3:4], v1 offset1:10
	s_waitcnt lgkmcnt(0)
	v_add_f32_e32 v3, v4, v3
	ds_store_b32 v1, v3
.LBB25_29:
	s_or_b32 exec_lo, exec_lo, s0
	s_delay_alu instid0(SALU_CYCLE_1)
	s_mov_b32 s0, exec_lo
	s_waitcnt lgkmcnt(0)
	buffer_gl0_inv
                                        ; implicit-def: $vgpr3
	v_cmpx_gt_u32_e32 5, v0
; %bb.30:
	v_add_nc_u32_e32 v3, 5, v0
	s_or_b32 s1, s1, exec_lo
                                        ; implicit-def: $vgpr2
; %bb.31:
	s_or_b32 exec_lo, exec_lo, s0
	v_mov_b32_e32 v4, v1
.LBB25_32:
	s_and_saveexec_b32 s0, s1
	s_cbranch_execz .LBB25_34
; %bb.33:
	v_lshlrev_b32_e32 v1, 2, v3
	ds_load_b32 v2, v4
	ds_load_b32 v1, v1
	s_waitcnt lgkmcnt(0)
	v_add_f32_e32 v2, v2, v1
.LBB25_34:
	s_or_b32 exec_lo, exec_lo, s0
	s_delay_alu instid0(SALU_CYCLE_1)
	s_mov_b32 s0, exec_lo
	v_cmpx_gt_u32_e32 5, v0
	s_cbranch_execz .LBB25_38
; %bb.35:
	v_cmp_eq_f32_e64 s0, s8, 0
	v_mul_f32_e32 v1, s12, v2
	s_delay_alu instid0(VALU_DEP_2)
	s_and_b32 vcc_lo, exec_lo, s0
	s_mov_b32 s0, 0
	s_cbranch_vccz .LBB25_39
; %bb.36:
	s_delay_alu instid0(VALU_DEP_1) | instskip(SKIP_1) | instid1(VALU_DEP_1)
	v_mad_u64_u32 v[2:3], null, s10, 5, v[0:1]
	v_mov_b32_e32 v3, 0
	v_lshlrev_b64 v[2:3], 2, v[2:3]
	s_delay_alu instid0(VALU_DEP_1) | instskip(NEXT) | instid1(VALU_DEP_2)
	v_add_co_u32 v2, vcc_lo, s4, v2
	v_add_co_ci_u32_e32 v3, vcc_lo, s5, v3, vcc_lo
	global_store_b32 v[2:3], v1, off
	s_and_not1_b32 vcc_lo, exec_lo, s0
	s_cbranch_vccnz .LBB25_38
.LBB25_37:
	v_mad_u64_u32 v[2:3], null, s10, 5, v[0:1]
	v_mov_b32_e32 v3, 0
	s_delay_alu instid0(VALU_DEP_1) | instskip(NEXT) | instid1(VALU_DEP_1)
	v_lshlrev_b64 v[2:3], 2, v[2:3]
	v_add_co_u32 v2, vcc_lo, s4, v2
	s_delay_alu instid0(VALU_DEP_2)
	v_add_co_ci_u32_e32 v3, vcc_lo, s5, v3, vcc_lo
	global_load_b32 v0, v[2:3], off
	s_waitcnt vmcnt(0)
	v_fmac_f32_e32 v1, s8, v0
	global_store_b32 v[2:3], v1, off
.LBB25_38:
	s_nop 0
	s_sendmsg sendmsg(MSG_DEALLOC_VGPRS)
	s_endpgm
.LBB25_39:
	s_branch .LBB25_37
	.section	.rodata,"a",@progbits
	.p2align	6, 0x0
	.amdhsa_kernel _ZN9rocsparseL18bsrxmvn_5x5_kernelILj50EfliDF16_DF16_fEEvT2_20rocsparse_direction_NS_24const_host_device_scalarIT0_EES1_PKS1_PKT1_SA_S7_PKT3_PKT4_S5_PT5_21rocsparse_index_base_b
		.amdhsa_group_segment_fixed_size 200
		.amdhsa_private_segment_fixed_size 0
		.amdhsa_kernarg_size 96
		.amdhsa_user_sgpr_count 15
		.amdhsa_user_sgpr_dispatch_ptr 0
		.amdhsa_user_sgpr_queue_ptr 0
		.amdhsa_user_sgpr_kernarg_segment_ptr 1
		.amdhsa_user_sgpr_dispatch_id 0
		.amdhsa_user_sgpr_private_segment_size 0
		.amdhsa_wavefront_size32 1
		.amdhsa_uses_dynamic_stack 0
		.amdhsa_enable_private_segment 0
		.amdhsa_system_sgpr_workgroup_id_x 1
		.amdhsa_system_sgpr_workgroup_id_y 0
		.amdhsa_system_sgpr_workgroup_id_z 0
		.amdhsa_system_sgpr_workgroup_info 0
		.amdhsa_system_vgpr_workitem_id 0
		.amdhsa_next_free_vgpr 12
		.amdhsa_next_free_sgpr 24
		.amdhsa_reserve_vcc 1
		.amdhsa_float_round_mode_32 0
		.amdhsa_float_round_mode_16_64 0
		.amdhsa_float_denorm_mode_32 3
		.amdhsa_float_denorm_mode_16_64 3
		.amdhsa_dx10_clamp 1
		.amdhsa_ieee_mode 1
		.amdhsa_fp16_overflow 0
		.amdhsa_workgroup_processor_mode 1
		.amdhsa_memory_ordered 1
		.amdhsa_forward_progress 0
		.amdhsa_shared_vgpr_count 0
		.amdhsa_exception_fp_ieee_invalid_op 0
		.amdhsa_exception_fp_denorm_src 0
		.amdhsa_exception_fp_ieee_div_zero 0
		.amdhsa_exception_fp_ieee_overflow 0
		.amdhsa_exception_fp_ieee_underflow 0
		.amdhsa_exception_fp_ieee_inexact 0
		.amdhsa_exception_int_div_zero 0
	.end_amdhsa_kernel
	.section	.text._ZN9rocsparseL18bsrxmvn_5x5_kernelILj50EfliDF16_DF16_fEEvT2_20rocsparse_direction_NS_24const_host_device_scalarIT0_EES1_PKS1_PKT1_SA_S7_PKT3_PKT4_S5_PT5_21rocsparse_index_base_b,"axG",@progbits,_ZN9rocsparseL18bsrxmvn_5x5_kernelILj50EfliDF16_DF16_fEEvT2_20rocsparse_direction_NS_24const_host_device_scalarIT0_EES1_PKS1_PKT1_SA_S7_PKT3_PKT4_S5_PT5_21rocsparse_index_base_b,comdat
.Lfunc_end25:
	.size	_ZN9rocsparseL18bsrxmvn_5x5_kernelILj50EfliDF16_DF16_fEEvT2_20rocsparse_direction_NS_24const_host_device_scalarIT0_EES1_PKS1_PKT1_SA_S7_PKT3_PKT4_S5_PT5_21rocsparse_index_base_b, .Lfunc_end25-_ZN9rocsparseL18bsrxmvn_5x5_kernelILj50EfliDF16_DF16_fEEvT2_20rocsparse_direction_NS_24const_host_device_scalarIT0_EES1_PKS1_PKT1_SA_S7_PKT3_PKT4_S5_PT5_21rocsparse_index_base_b
                                        ; -- End function
	.section	.AMDGPU.csdata,"",@progbits
; Kernel info:
; codeLenInByte = 1480
; NumSgprs: 26
; NumVgprs: 12
; ScratchSize: 0
; MemoryBound: 0
; FloatMode: 240
; IeeeMode: 1
; LDSByteSize: 200 bytes/workgroup (compile time only)
; SGPRBlocks: 3
; VGPRBlocks: 1
; NumSGPRsForWavesPerEU: 26
; NumVGPRsForWavesPerEU: 12
; Occupancy: 16
; WaveLimiterHint : 1
; COMPUTE_PGM_RSRC2:SCRATCH_EN: 0
; COMPUTE_PGM_RSRC2:USER_SGPR: 15
; COMPUTE_PGM_RSRC2:TRAP_HANDLER: 0
; COMPUTE_PGM_RSRC2:TGID_X_EN: 1
; COMPUTE_PGM_RSRC2:TGID_Y_EN: 0
; COMPUTE_PGM_RSRC2:TGID_Z_EN: 0
; COMPUTE_PGM_RSRC2:TIDIG_COMP_CNT: 0
	.section	.text._ZN9rocsparseL18bsrxmvn_5x5_kernelILj50EfllDF16_DF16_fEEvT2_20rocsparse_direction_NS_24const_host_device_scalarIT0_EES1_PKS1_PKT1_SA_S7_PKT3_PKT4_S5_PT5_21rocsparse_index_base_b,"axG",@progbits,_ZN9rocsparseL18bsrxmvn_5x5_kernelILj50EfllDF16_DF16_fEEvT2_20rocsparse_direction_NS_24const_host_device_scalarIT0_EES1_PKS1_PKT1_SA_S7_PKT3_PKT4_S5_PT5_21rocsparse_index_base_b,comdat
	.globl	_ZN9rocsparseL18bsrxmvn_5x5_kernelILj50EfllDF16_DF16_fEEvT2_20rocsparse_direction_NS_24const_host_device_scalarIT0_EES1_PKS1_PKT1_SA_S7_PKT3_PKT4_S5_PT5_21rocsparse_index_base_b ; -- Begin function _ZN9rocsparseL18bsrxmvn_5x5_kernelILj50EfllDF16_DF16_fEEvT2_20rocsparse_direction_NS_24const_host_device_scalarIT0_EES1_PKS1_PKT1_SA_S7_PKT3_PKT4_S5_PT5_21rocsparse_index_base_b
	.p2align	8
	.type	_ZN9rocsparseL18bsrxmvn_5x5_kernelILj50EfllDF16_DF16_fEEvT2_20rocsparse_direction_NS_24const_host_device_scalarIT0_EES1_PKS1_PKT1_SA_S7_PKT3_PKT4_S5_PT5_21rocsparse_index_base_b,@function
_ZN9rocsparseL18bsrxmvn_5x5_kernelILj50EfllDF16_DF16_fEEvT2_20rocsparse_direction_NS_24const_host_device_scalarIT0_EES1_PKS1_PKT1_SA_S7_PKT3_PKT4_S5_PT5_21rocsparse_index_base_b: ; @_ZN9rocsparseL18bsrxmvn_5x5_kernelILj50EfllDF16_DF16_fEEvT2_20rocsparse_direction_NS_24const_host_device_scalarIT0_EES1_PKS1_PKT1_SA_S7_PKT3_PKT4_S5_PT5_21rocsparse_index_base_b
; %bb.0:
	s_mov_b32 s10, s15
	s_clause 0x2
	s_load_b64 s[14:15], s[0:1], 0x60
	s_load_b64 s[12:13], s[0:1], 0x10
	;; [unrolled: 1-line block ×3, first 2 shown]
	s_waitcnt lgkmcnt(0)
	s_bitcmp1_b32 s15, 0
	s_cselect_b32 s2, -1, 0
	s_delay_alu instid0(SALU_CYCLE_1)
	s_and_b32 vcc_lo, exec_lo, s2
	s_xor_b32 s2, s2, -1
	s_cbranch_vccnz .LBB26_2
; %bb.1:
	s_load_b32 s12, s[12:13], 0x0
.LBB26_2:
	s_and_not1_b32 vcc_lo, exec_lo, s2
	s_cbranch_vccnz .LBB26_4
; %bb.3:
	s_load_b32 s8, s[8:9], 0x0
.LBB26_4:
	s_waitcnt lgkmcnt(0)
	v_cmp_neq_f32_e64 s2, s12, 0
	v_cmp_neq_f32_e64 s3, s8, 1.0
	s_mov_b32 s11, 0
	s_delay_alu instid0(VALU_DEP_1) | instskip(NEXT) | instid1(SALU_CYCLE_1)
	s_or_b32 s2, s2, s3
	s_and_not1_b32 vcc_lo, exec_lo, s2
	s_cbranch_vccnz .LBB26_41
; %bb.5:
	s_clause 0x1
	s_load_b128 s[4:7], s[0:1], 0x20
	s_load_b64 s[16:17], s[0:1], 0x30
	s_waitcnt lgkmcnt(0)
	s_cmp_eq_u64 s[4:5], 0
	s_cbranch_scc1 .LBB26_7
; %bb.6:
	s_lshl_b64 s[2:3], s[10:11], 3
	s_delay_alu instid0(SALU_CYCLE_1)
	s_add_u32 s2, s4, s2
	s_addc_u32 s3, s5, s3
	s_load_b64 s[2:3], s[2:3], 0x0
	s_waitcnt lgkmcnt(0)
	s_sub_u32 s10, s2, s14
	s_subb_u32 s11, s3, 0
.LBB26_7:
	s_load_b32 s3, s[0:1], 0x8
	v_mul_u32_u24_e32 v1, 0x3334, v0
	s_delay_alu instid0(VALU_DEP_1) | instskip(NEXT) | instid1(VALU_DEP_1)
	v_lshrrev_b32_e32 v2, 16, v1
	v_mul_lo_u16 v3, v2, 5
	s_waitcnt lgkmcnt(0)
	s_cmp_eq_u32 s3, 1
	s_cselect_b32 s2, -1, 0
	s_cmp_lg_u32 s3, 1
	s_cselect_b32 s9, -1, 0
	s_lshl_b64 s[4:5], s[10:11], 3
	s_delay_alu instid0(SALU_CYCLE_1)
	s_add_u32 s6, s6, s4
	s_addc_u32 s7, s7, s5
	s_add_u32 s3, s6, 8
	s_addc_u32 s13, s7, 0
	;; [unrolled: 2-line block ×3, first 2 shown]
	s_cmp_eq_u64 s[16:17], 0
	s_cselect_b32 s5, s13, s5
	s_cselect_b32 s4, s3, s4
	s_load_b64 s[6:7], s[6:7], 0x0
	s_load_b64 s[16:17], s[4:5], 0x0
	s_waitcnt lgkmcnt(0)
	v_cmp_lt_i64_e64 s3, s[6:7], s[16:17]
	s_delay_alu instid0(VALU_DEP_1)
	s_and_b32 vcc_lo, exec_lo, s3
	s_cbranch_vccnz .LBB26_9
; %bb.8:
	v_mov_b32_e32 v1, 0
	s_mov_b32 s3, 0
	s_branch .LBB26_10
.LBB26_9:
	s_mov_b32 s3, -1
.LBB26_10:
	s_load_b64 s[4:5], s[0:1], 0x58
	v_cndmask_b32_e64 v4, 0, 1, s3
	v_sub_nc_u16 v9, v0, v3
	v_mov_b32_e32 v8, s3
	s_delay_alu instid0(VALU_DEP_3)
	v_cmp_ne_u32_e32 vcc_lo, 1, v4
	s_cbranch_vccnz .LBB26_15
; %bb.11:
	v_mul_lo_u16 v3, v2, 52
	v_dual_mov_b32 v1, 0 :: v_dual_and_b32 v8, 0xffff, v0
	s_clause 0x1
	s_load_b64 s[18:19], s[0:1], 0x48
	s_load_b128 s[20:23], s[0:1], 0x38
	v_lshrrev_b16 v5, 8, v3
	v_dual_mov_b32 v4, v1 :: v_dual_lshlrev_b32 v3, 1, v0
	s_mul_hi_u32 s1, s14, 50
	s_sub_u32 s0, s16, s14
	s_delay_alu instid0(VALU_DEP_2) | instskip(NEXT) | instid1(VALU_DEP_2)
	v_mul_lo_u16 v7, v5, 5
	v_mad_u64_u32 v[5:6], null, s6, 50, v[3:4]
	v_mul_u32_u24_e32 v4, 0xa3e, v8
	s_delay_alu instid0(VALU_DEP_3) | instskip(SKIP_1) | instid1(VALU_DEP_3)
	v_sub_nc_u16 v2, v2, v7
	v_and_b32_e32 v3, 0xffff, v9
	v_lshrrev_b32_e32 v10, 16, v4
	s_delay_alu instid0(VALU_DEP_3) | instskip(NEXT) | instid1(VALU_DEP_1)
	v_dual_mov_b32 v2, v6 :: v_dual_and_b32 v7, 0xff, v2
	v_cndmask_b32_e64 v6, v3, v7, s2
	s_delay_alu instid0(VALU_DEP_2) | instskip(NEXT) | instid1(VALU_DEP_4)
	v_mad_u64_u32 v[3:4], null, s7, 50, v[2:3]
	v_add_co_u32 v4, s3, s6, v10
	s_delay_alu instid0(VALU_DEP_1) | instskip(NEXT) | instid1(VALU_DEP_4)
	v_add_co_ci_u32_e64 v7, null, s7, 0, s3
	v_lshlrev_b32_e32 v2, 1, v6
	s_delay_alu instid0(VALU_DEP_3) | instskip(SKIP_1) | instid1(VALU_DEP_4)
	v_sub_co_u32 v6, vcc_lo, v4, s14
	v_mov_b32_e32 v8, v3
	v_subrev_co_ci_u32_e32 v7, vcc_lo, 0, v7, vcc_lo
	s_mul_i32 s2, s14, 50
	s_waitcnt lgkmcnt(0)
	v_add_co_u32 v2, s3, s18, v2
	v_sub_co_u32 v4, vcc_lo, v5, s2
	v_subrev_co_ci_u32_e32 v5, vcc_lo, s1, v8, vcc_lo
	v_lshlrev_b64 v[6:7], 3, v[6:7]
	s_delay_alu instid0(VALU_DEP_3) | instskip(NEXT) | instid1(VALU_DEP_3)
	v_add_co_u32 v4, vcc_lo, s22, v4
	v_add_co_ci_u32_e32 v5, vcc_lo, s23, v5, vcc_lo
	v_add_co_ci_u32_e64 v3, null, s19, 0, s3
	s_delay_alu instid0(VALU_DEP_4)
	v_add_co_u32 v6, vcc_lo, s20, v6
	v_add_co_ci_u32_e32 v7, vcc_lo, s21, v7, vcc_lo
	v_mov_b32_e32 v8, v1
	s_subb_u32 s1, s17, 0
	s_sub_u32 s2, s6, s14
	s_subb_u32 s3, s7, 0
	s_set_inst_prefetch_distance 0x1
	s_branch .LBB26_13
	.p2align	6
.LBB26_12:                              ;   in Loop: Header=BB26_13 Depth=1
	s_or_b32 exec_lo, exec_lo, s6
	s_add_u32 s2, s2, 2
	s_addc_u32 s3, s3, 0
	v_add_co_u32 v4, vcc_lo, 0x64, v4
	v_cmp_ge_i64_e64 s6, s[2:3], s[0:1]
	v_add_co_ci_u32_e32 v5, vcc_lo, 0, v5, vcc_lo
	v_add_co_u32 v6, vcc_lo, v6, 16
	v_add_co_ci_u32_e32 v7, vcc_lo, 0, v7, vcc_lo
	s_delay_alu instid0(VALU_DEP_4)
	s_and_b32 vcc_lo, exec_lo, s6
	s_cbranch_vccnz .LBB26_15
.LBB26_13:                              ; =>This Inner Loop Header: Depth=1
	v_add_co_u32 v11, s6, v10, s2
	s_delay_alu instid0(VALU_DEP_1) | instskip(SKIP_1) | instid1(VALU_DEP_1)
	v_add_co_ci_u32_e64 v12, null, 0, s3, s6
	s_mov_b32 s6, exec_lo
	v_cmpx_gt_i64_e64 s[0:1], v[11:12]
	s_cbranch_execz .LBB26_12
; %bb.14:                               ;   in Loop: Header=BB26_13 Depth=1
	global_load_b64 v[11:12], v[6:7], off
	s_waitcnt vmcnt(0)
	v_sub_co_u32 v13, vcc_lo, v11, s14
	v_subrev_co_ci_u32_e32 v15, vcc_lo, 0, v12, vcc_lo
	s_delay_alu instid0(VALU_DEP_2) | instskip(NEXT) | instid1(VALU_DEP_1)
	v_mad_u64_u32 v[11:12], null, v13, 10, v[2:3]
	v_mad_u64_u32 v[13:14], null, v15, 10, v[12:13]
	s_delay_alu instid0(VALU_DEP_1)
	v_mov_b32_e32 v12, v13
	global_load_u16 v13, v[4:5], off
	global_load_u16 v11, v[11:12], off
	s_waitcnt vmcnt(0)
	v_fma_mix_f32 v8, v13, v11, v8 op_sel_hi:[1,1,0]
	s_branch .LBB26_12
.LBB26_15:
	s_set_inst_prefetch_distance 0x2
	v_lshlrev_b32_e32 v2, 2, v0
	s_and_b32 vcc_lo, exec_lo, s9
	ds_store_b32 v2, v8
	s_waitcnt lgkmcnt(0)
	buffer_gl0_inv
	s_cbranch_vccz .LBB26_25
; %bb.16:
	s_mov_b32 s0, exec_lo
	v_cmpx_gt_u32_e32 25, v0
	s_cbranch_execz .LBB26_18
; %bb.17:
	ds_load_2addr_b32 v[3:4], v2 offset1:25
	s_waitcnt lgkmcnt(0)
	v_add_f32_e32 v3, v4, v3
	ds_store_b32 v2, v3
.LBB26_18:
	s_or_b32 exec_lo, exec_lo, s0
	s_delay_alu instid0(SALU_CYCLE_1)
	s_mov_b32 s0, exec_lo
	s_waitcnt lgkmcnt(0)
	buffer_gl0_inv
	v_cmpx_eq_u16_e32 0, v9
	s_cbranch_execz .LBB26_20
; %bb.19:
	ds_load_2addr_b32 v[3:4], v2 offset1:4
	s_waitcnt lgkmcnt(0)
	v_add_f32_e32 v3, v4, v3
	ds_store_b32 v2, v3
.LBB26_20:
	s_or_b32 exec_lo, exec_lo, s0
	s_delay_alu instid0(SALU_CYCLE_1)
	s_mov_b32 s0, exec_lo
	s_waitcnt lgkmcnt(0)
	buffer_gl0_inv
	v_cmpx_gt_u16_e32 2, v9
	s_cbranch_execz .LBB26_22
; %bb.21:
	ds_load_2addr_b32 v[3:4], v2 offset1:2
	s_waitcnt lgkmcnt(0)
	v_add_f32_e32 v3, v4, v3
	ds_store_b32 v2, v3
.LBB26_22:
	s_or_b32 exec_lo, exec_lo, s0
	s_mov_b32 s0, 0
	s_mov_b32 s1, 0
	s_mov_b32 s2, exec_lo
	s_waitcnt lgkmcnt(0)
	buffer_gl0_inv
                                        ; implicit-def: $vgpr3
                                        ; implicit-def: $vgpr4
	v_cmpx_gt_u32_e32 5, v0
	s_xor_b32 s2, exec_lo, s2
; %bb.23:
	v_mad_u32_u24 v3, v0, 5, 1
	v_lshl_add_u32 v4, v0, 4, v2
	s_mov_b32 s1, exec_lo
; %bb.24:
	s_or_b32 exec_lo, exec_lo, s2
	s_delay_alu instid0(SALU_CYCLE_1)
	s_and_b32 vcc_lo, exec_lo, s0
	s_cbranch_vccnz .LBB26_26
	s_branch .LBB26_35
.LBB26_25:
	s_mov_b32 s1, 0
                                        ; implicit-def: $vgpr3
                                        ; implicit-def: $vgpr4
	s_cbranch_execz .LBB26_35
.LBB26_26:
	v_cmp_gt_u32_e32 vcc_lo, 10, v0
	s_and_saveexec_b32 s0, vcc_lo
	s_cbranch_execz .LBB26_28
; %bb.27:
	ds_load_2addr_b32 v[3:4], v2 offset1:40
	s_waitcnt lgkmcnt(0)
	v_add_f32_e32 v3, v4, v3
	ds_store_b32 v2, v3
.LBB26_28:
	s_or_b32 exec_lo, exec_lo, s0
	s_delay_alu instid0(SALU_CYCLE_1)
	s_mov_b32 s2, exec_lo
	s_waitcnt lgkmcnt(0)
	buffer_gl0_inv
	v_cmpx_gt_u32_e32 20, v0
	s_cbranch_execz .LBB26_30
; %bb.29:
	ds_load_2addr_b32 v[3:4], v2 offset1:20
	s_waitcnt lgkmcnt(0)
	v_add_f32_e32 v3, v4, v3
	ds_store_b32 v2, v3
.LBB26_30:
	s_or_b32 exec_lo, exec_lo, s2
	s_waitcnt lgkmcnt(0)
	buffer_gl0_inv
	s_and_saveexec_b32 s0, vcc_lo
	s_cbranch_execz .LBB26_32
; %bb.31:
	ds_load_2addr_b32 v[3:4], v2 offset1:10
	s_waitcnt lgkmcnt(0)
	v_add_f32_e32 v3, v4, v3
	ds_store_b32 v2, v3
.LBB26_32:
	s_or_b32 exec_lo, exec_lo, s0
	s_delay_alu instid0(SALU_CYCLE_1)
	s_mov_b32 s0, exec_lo
	s_waitcnt lgkmcnt(0)
	buffer_gl0_inv
                                        ; implicit-def: $vgpr3
	v_cmpx_gt_u32_e32 5, v0
; %bb.33:
	v_add_nc_u32_e32 v3, 5, v0
	s_or_b32 s1, s1, exec_lo
                                        ; implicit-def: $vgpr8
; %bb.34:
	s_or_b32 exec_lo, exec_lo, s0
	v_mov_b32_e32 v4, v2
.LBB26_35:
	s_and_saveexec_b32 s0, s1
	s_cbranch_execz .LBB26_37
; %bb.36:
	v_lshlrev_b32_e32 v2, 2, v3
	ds_load_b32 v3, v4
	ds_load_b32 v2, v2
	s_waitcnt lgkmcnt(0)
	v_add_f32_e32 v8, v3, v2
.LBB26_37:
	s_or_b32 exec_lo, exec_lo, s0
	s_delay_alu instid0(SALU_CYCLE_1)
	s_mov_b32 s0, exec_lo
	v_cmpx_gt_u32_e32 5, v0
	s_cbranch_execz .LBB26_41
; %bb.38:
	v_cmp_eq_f32_e64 s2, s8, 0
	v_lshlrev_b64 v[0:1], 2, v[0:1]
	v_mul_f32_e32 v2, s12, v8
	s_mov_b32 s1, 0
	s_mul_i32 s0, s11, 20
	s_and_b32 vcc_lo, exec_lo, s2
	s_mul_hi_u32 s2, s10, 20
	s_mul_i32 s3, s10, 20
	s_cbranch_vccz .LBB26_42
; %bb.39:
	s_add_i32 s6, s2, s0
	s_add_u32 s7, s4, s3
	s_addc_u32 s6, s5, s6
	v_add_co_u32 v3, vcc_lo, s7, v0
	v_add_co_ci_u32_e32 v4, vcc_lo, s6, v1, vcc_lo
	global_store_b32 v[3:4], v2, off
	s_and_not1_b32 vcc_lo, exec_lo, s1
	s_cbranch_vccnz .LBB26_41
.LBB26_40:
	s_add_i32 s2, s2, s0
	s_add_u32 s0, s4, s3
	s_addc_u32 s1, s5, s2
	v_add_co_u32 v0, vcc_lo, s0, v0
	v_add_co_ci_u32_e32 v1, vcc_lo, s1, v1, vcc_lo
	global_load_b32 v3, v[0:1], off
	s_waitcnt vmcnt(0)
	v_fmac_f32_e32 v2, s8, v3
	global_store_b32 v[0:1], v2, off
.LBB26_41:
	s_nop 0
	s_sendmsg sendmsg(MSG_DEALLOC_VGPRS)
	s_endpgm
.LBB26_42:
	s_branch .LBB26_40
	.section	.rodata,"a",@progbits
	.p2align	6, 0x0
	.amdhsa_kernel _ZN9rocsparseL18bsrxmvn_5x5_kernelILj50EfllDF16_DF16_fEEvT2_20rocsparse_direction_NS_24const_host_device_scalarIT0_EES1_PKS1_PKT1_SA_S7_PKT3_PKT4_S5_PT5_21rocsparse_index_base_b
		.amdhsa_group_segment_fixed_size 200
		.amdhsa_private_segment_fixed_size 0
		.amdhsa_kernarg_size 104
		.amdhsa_user_sgpr_count 15
		.amdhsa_user_sgpr_dispatch_ptr 0
		.amdhsa_user_sgpr_queue_ptr 0
		.amdhsa_user_sgpr_kernarg_segment_ptr 1
		.amdhsa_user_sgpr_dispatch_id 0
		.amdhsa_user_sgpr_private_segment_size 0
		.amdhsa_wavefront_size32 1
		.amdhsa_uses_dynamic_stack 0
		.amdhsa_enable_private_segment 0
		.amdhsa_system_sgpr_workgroup_id_x 1
		.amdhsa_system_sgpr_workgroup_id_y 0
		.amdhsa_system_sgpr_workgroup_id_z 0
		.amdhsa_system_sgpr_workgroup_info 0
		.amdhsa_system_vgpr_workitem_id 0
		.amdhsa_next_free_vgpr 16
		.amdhsa_next_free_sgpr 24
		.amdhsa_reserve_vcc 1
		.amdhsa_float_round_mode_32 0
		.amdhsa_float_round_mode_16_64 0
		.amdhsa_float_denorm_mode_32 3
		.amdhsa_float_denorm_mode_16_64 3
		.amdhsa_dx10_clamp 1
		.amdhsa_ieee_mode 1
		.amdhsa_fp16_overflow 0
		.amdhsa_workgroup_processor_mode 1
		.amdhsa_memory_ordered 1
		.amdhsa_forward_progress 0
		.amdhsa_shared_vgpr_count 0
		.amdhsa_exception_fp_ieee_invalid_op 0
		.amdhsa_exception_fp_denorm_src 0
		.amdhsa_exception_fp_ieee_div_zero 0
		.amdhsa_exception_fp_ieee_overflow 0
		.amdhsa_exception_fp_ieee_underflow 0
		.amdhsa_exception_fp_ieee_inexact 0
		.amdhsa_exception_int_div_zero 0
	.end_amdhsa_kernel
	.section	.text._ZN9rocsparseL18bsrxmvn_5x5_kernelILj50EfllDF16_DF16_fEEvT2_20rocsparse_direction_NS_24const_host_device_scalarIT0_EES1_PKS1_PKT1_SA_S7_PKT3_PKT4_S5_PT5_21rocsparse_index_base_b,"axG",@progbits,_ZN9rocsparseL18bsrxmvn_5x5_kernelILj50EfllDF16_DF16_fEEvT2_20rocsparse_direction_NS_24const_host_device_scalarIT0_EES1_PKS1_PKT1_SA_S7_PKT3_PKT4_S5_PT5_21rocsparse_index_base_b,comdat
.Lfunc_end26:
	.size	_ZN9rocsparseL18bsrxmvn_5x5_kernelILj50EfllDF16_DF16_fEEvT2_20rocsparse_direction_NS_24const_host_device_scalarIT0_EES1_PKS1_PKT1_SA_S7_PKT3_PKT4_S5_PT5_21rocsparse_index_base_b, .Lfunc_end26-_ZN9rocsparseL18bsrxmvn_5x5_kernelILj50EfllDF16_DF16_fEEvT2_20rocsparse_direction_NS_24const_host_device_scalarIT0_EES1_PKS1_PKT1_SA_S7_PKT3_PKT4_S5_PT5_21rocsparse_index_base_b
                                        ; -- End function
	.section	.AMDGPU.csdata,"",@progbits
; Kernel info:
; codeLenInByte = 1516
; NumSgprs: 26
; NumVgprs: 16
; ScratchSize: 0
; MemoryBound: 0
; FloatMode: 240
; IeeeMode: 1
; LDSByteSize: 200 bytes/workgroup (compile time only)
; SGPRBlocks: 3
; VGPRBlocks: 1
; NumSGPRsForWavesPerEU: 26
; NumVGPRsForWavesPerEU: 16
; Occupancy: 16
; WaveLimiterHint : 1
; COMPUTE_PGM_RSRC2:SCRATCH_EN: 0
; COMPUTE_PGM_RSRC2:USER_SGPR: 15
; COMPUTE_PGM_RSRC2:TRAP_HANDLER: 0
; COMPUTE_PGM_RSRC2:TGID_X_EN: 1
; COMPUTE_PGM_RSRC2:TGID_Y_EN: 0
; COMPUTE_PGM_RSRC2:TGID_Z_EN: 0
; COMPUTE_PGM_RSRC2:TIDIG_COMP_CNT: 0
	.section	.text._ZN9rocsparseL18bsrxmvn_5x5_kernelILj50Efii18rocsparse_bfloat16S1_fEEvT2_20rocsparse_direction_NS_24const_host_device_scalarIT0_EES2_PKS2_PKT1_SB_S8_PKT3_PKT4_S6_PT5_21rocsparse_index_base_b,"axG",@progbits,_ZN9rocsparseL18bsrxmvn_5x5_kernelILj50Efii18rocsparse_bfloat16S1_fEEvT2_20rocsparse_direction_NS_24const_host_device_scalarIT0_EES2_PKS2_PKT1_SB_S8_PKT3_PKT4_S6_PT5_21rocsparse_index_base_b,comdat
	.globl	_ZN9rocsparseL18bsrxmvn_5x5_kernelILj50Efii18rocsparse_bfloat16S1_fEEvT2_20rocsparse_direction_NS_24const_host_device_scalarIT0_EES2_PKS2_PKT1_SB_S8_PKT3_PKT4_S6_PT5_21rocsparse_index_base_b ; -- Begin function _ZN9rocsparseL18bsrxmvn_5x5_kernelILj50Efii18rocsparse_bfloat16S1_fEEvT2_20rocsparse_direction_NS_24const_host_device_scalarIT0_EES2_PKS2_PKT1_SB_S8_PKT3_PKT4_S6_PT5_21rocsparse_index_base_b
	.p2align	8
	.type	_ZN9rocsparseL18bsrxmvn_5x5_kernelILj50Efii18rocsparse_bfloat16S1_fEEvT2_20rocsparse_direction_NS_24const_host_device_scalarIT0_EES2_PKS2_PKT1_SB_S8_PKT3_PKT4_S6_PT5_21rocsparse_index_base_b,@function
_ZN9rocsparseL18bsrxmvn_5x5_kernelILj50Efii18rocsparse_bfloat16S1_fEEvT2_20rocsparse_direction_NS_24const_host_device_scalarIT0_EES2_PKS2_PKT1_SB_S8_PKT3_PKT4_S6_PT5_21rocsparse_index_base_b: ; @_ZN9rocsparseL18bsrxmvn_5x5_kernelILj50Efii18rocsparse_bfloat16S1_fEEvT2_20rocsparse_direction_NS_24const_host_device_scalarIT0_EES2_PKS2_PKT1_SB_S8_PKT3_PKT4_S6_PT5_21rocsparse_index_base_b
; %bb.0:
	s_mov_b32 s8, s15
	s_clause 0x2
	s_load_b64 s[14:15], s[0:1], 0x58
	s_load_b64 s[10:11], s[0:1], 0x8
	;; [unrolled: 1-line block ×3, first 2 shown]
	s_waitcnt lgkmcnt(0)
	s_bitcmp1_b32 s15, 0
	s_cselect_b32 s4, -1, 0
	s_delay_alu instid0(SALU_CYCLE_1)
	s_and_b32 vcc_lo, exec_lo, s4
	s_xor_b32 s4, s4, -1
	s_cbranch_vccnz .LBB27_2
; %bb.1:
	s_load_b32 s10, s[10:11], 0x0
.LBB27_2:
	s_and_not1_b32 vcc_lo, exec_lo, s4
	s_cbranch_vccnz .LBB27_4
; %bb.3:
	s_load_b32 s2, s[2:3], 0x0
.LBB27_4:
	s_waitcnt lgkmcnt(0)
	v_cmp_neq_f32_e64 s3, s10, 0
	v_cmp_neq_f32_e64 s4, s2, 1.0
	s_delay_alu instid0(VALU_DEP_1) | instskip(NEXT) | instid1(SALU_CYCLE_1)
	s_or_b32 s3, s3, s4
	s_and_not1_b32 vcc_lo, exec_lo, s3
	s_cbranch_vccnz .LBB27_38
; %bb.5:
	s_clause 0x1
	s_load_b128 s[4:7], s[0:1], 0x18
	s_load_b64 s[12:13], s[0:1], 0x28
	s_waitcnt lgkmcnt(0)
	s_cmp_eq_u64 s[4:5], 0
	s_cbranch_scc1 .LBB27_7
; %bb.6:
	s_ashr_i32 s9, s8, 31
	s_delay_alu instid0(SALU_CYCLE_1) | instskip(NEXT) | instid1(SALU_CYCLE_1)
	s_lshl_b64 s[8:9], s[8:9], 2
	s_add_u32 s4, s4, s8
	s_addc_u32 s5, s5, s9
	s_load_b32 s3, s[4:5], 0x0
	s_waitcnt lgkmcnt(0)
	s_sub_i32 s8, s3, s14
.LBB27_7:
	s_load_b32 s3, s[0:1], 0x4
	v_mul_u32_u24_e32 v1, 0x3334, v0
	v_mov_b32_e32 v6, 0
	s_delay_alu instid0(VALU_DEP_2) | instskip(NEXT) | instid1(VALU_DEP_1)
	v_lshrrev_b32_e32 v1, 16, v1
	v_mul_lo_u16 v2, v1, 5
	s_delay_alu instid0(VALU_DEP_1)
	v_sub_nc_u16 v7, v0, v2
	s_waitcnt lgkmcnt(0)
	s_cmp_eq_u32 s3, 1
	s_cselect_b32 vcc_lo, -1, 0
	s_cmp_lg_u32 s3, 1
	s_cselect_b32 s3, -1, 0
	s_ashr_i32 s9, s8, 31
	s_delay_alu instid0(SALU_CYCLE_1) | instskip(NEXT) | instid1(SALU_CYCLE_1)
	s_lshl_b64 s[4:5], s[8:9], 2
	s_add_u32 s6, s6, s4
	s_addc_u32 s7, s7, s5
	s_add_u32 s9, s6, 4
	s_addc_u32 s11, s7, 0
	;; [unrolled: 2-line block ×3, first 2 shown]
	s_cmp_eq_u64 s[12:13], 0
	s_load_b64 s[12:13], s[0:1], 0x50
	s_cselect_b32 s5, s11, s5
	s_cselect_b32 s4, s9, s4
	s_load_b32 s11, s[6:7], 0x0
	s_load_b32 s9, s[4:5], 0x0
	s_waitcnt lgkmcnt(0)
	s_cmp_ge_i32 s11, s9
	s_cbranch_scc1 .LBB27_12
; %bb.8:
	v_mul_lo_u16 v2, v1, 52
	s_clause 0x1
	s_load_b128 s[4:7], s[0:1], 0x30
	s_load_b64 s[0:1], s[0:1], 0x40
	v_and_b32_e32 v5, 0xffff, v0
	v_mad_u64_u32 v[3:4], null, s11, 25, v[0:1]
	v_lshrrev_b16 v2, 8, v2
	v_and_b32_e32 v4, 0xffff, v7
	s_mul_i32 s15, s14, 25
	s_sub_i32 s9, s9, s14
	s_sub_i32 s11, s11, s14
	v_mul_lo_u16 v2, v2, 5
	s_delay_alu instid0(VALU_DEP_1) | instskip(SKIP_2) | instid1(VALU_DEP_3)
	v_sub_nc_u16 v1, v1, v2
	v_mov_b32_e32 v2, 0
	v_mul_u32_u24_e32 v5, 0xa3e, v5
	v_and_b32_e32 v6, 0xff, v1
	v_subrev_nc_u32_e32 v1, s15, v3
	s_delay_alu instid0(VALU_DEP_3) | instskip(NEXT) | instid1(VALU_DEP_3)
	v_lshrrev_b32_e32 v8, 16, v5
	v_dual_cndmask_b32 v3, v4, v6 :: v_dual_mov_b32 v6, v2
	s_set_inst_prefetch_distance 0x1
	s_branch .LBB27_10
	.p2align	6
.LBB27_9:                               ;   in Loop: Header=BB27_10 Depth=1
	s_or_b32 exec_lo, exec_lo, s15
	v_add_nc_u32_e32 v1, 50, v1
	s_add_i32 s11, s11, 2
	s_delay_alu instid0(SALU_CYCLE_1)
	s_cmp_ge_i32 s11, s9
	s_cbranch_scc1 .LBB27_12
.LBB27_10:                              ; =>This Inner Loop Header: Depth=1
	s_delay_alu instid0(VALU_DEP_2) | instskip(SKIP_1) | instid1(VALU_DEP_1)
	v_add_nc_u32_e32 v4, s11, v8
	s_mov_b32 s15, exec_lo
	v_cmpx_gt_i32_e64 s9, v4
	s_cbranch_execz .LBB27_9
; %bb.11:                               ;   in Loop: Header=BB27_10 Depth=1
	v_ashrrev_i32_e32 v5, 31, v4
	s_delay_alu instid0(VALU_DEP_1) | instskip(SKIP_1) | instid1(VALU_DEP_1)
	v_lshlrev_b64 v[4:5], 2, v[4:5]
	s_waitcnt lgkmcnt(0)
	v_add_co_u32 v4, vcc_lo, s4, v4
	s_delay_alu instid0(VALU_DEP_2) | instskip(SKIP_3) | instid1(VALU_DEP_1)
	v_add_co_ci_u32_e32 v5, vcc_lo, s5, v5, vcc_lo
	global_load_b32 v4, v[4:5], off
	s_waitcnt vmcnt(0)
	v_subrev_nc_u32_e32 v9, s14, v4
	v_mad_u64_u32 v[4:5], null, v9, 5, v[3:4]
	v_lshlrev_b64 v[9:10], 1, v[1:2]
	s_delay_alu instid0(VALU_DEP_1) | instskip(NEXT) | instid1(VALU_DEP_3)
	v_add_co_u32 v9, vcc_lo, s6, v9
	v_ashrrev_i32_e32 v5, 31, v4
	s_delay_alu instid0(VALU_DEP_3) | instskip(NEXT) | instid1(VALU_DEP_2)
	v_add_co_ci_u32_e32 v10, vcc_lo, s7, v10, vcc_lo
	v_lshlrev_b64 v[4:5], 1, v[4:5]
	s_delay_alu instid0(VALU_DEP_1) | instskip(NEXT) | instid1(VALU_DEP_2)
	v_add_co_u32 v4, vcc_lo, s0, v4
	v_add_co_ci_u32_e32 v5, vcc_lo, s1, v5, vcc_lo
	global_load_u16 v9, v[9:10], off
	global_load_u16 v4, v[4:5], off
	s_waitcnt vmcnt(1)
	v_lshlrev_b32_e32 v5, 16, v9
	s_waitcnt vmcnt(0)
	v_lshlrev_b32_e32 v4, 16, v4
	s_delay_alu instid0(VALU_DEP_1)
	v_fmac_f32_e32 v6, v5, v4
	s_branch .LBB27_9
.LBB27_12:
	s_set_inst_prefetch_distance 0x2
	v_lshlrev_b32_e32 v1, 2, v0
	s_and_b32 vcc_lo, exec_lo, s3
	ds_store_b32 v1, v6
	s_waitcnt lgkmcnt(0)
	buffer_gl0_inv
	s_cbranch_vccz .LBB27_22
; %bb.13:
	s_mov_b32 s0, exec_lo
	v_cmpx_gt_u32_e32 25, v0
	s_cbranch_execz .LBB27_15
; %bb.14:
	ds_load_2addr_b32 v[2:3], v1 offset1:25
	s_waitcnt lgkmcnt(0)
	v_add_f32_e32 v2, v3, v2
	ds_store_b32 v1, v2
.LBB27_15:
	s_or_b32 exec_lo, exec_lo, s0
	s_delay_alu instid0(SALU_CYCLE_1)
	s_mov_b32 s0, exec_lo
	s_waitcnt lgkmcnt(0)
	buffer_gl0_inv
	v_cmpx_eq_u16_e32 0, v7
	s_cbranch_execz .LBB27_17
; %bb.16:
	ds_load_2addr_b32 v[2:3], v1 offset1:4
	s_waitcnt lgkmcnt(0)
	v_add_f32_e32 v2, v3, v2
	ds_store_b32 v1, v2
.LBB27_17:
	s_or_b32 exec_lo, exec_lo, s0
	s_delay_alu instid0(SALU_CYCLE_1)
	s_mov_b32 s0, exec_lo
	s_waitcnt lgkmcnt(0)
	buffer_gl0_inv
	v_cmpx_gt_u16_e32 2, v7
	s_cbranch_execz .LBB27_19
; %bb.18:
	ds_load_2addr_b32 v[2:3], v1 offset1:2
	s_waitcnt lgkmcnt(0)
	v_add_f32_e32 v2, v3, v2
	ds_store_b32 v1, v2
.LBB27_19:
	s_or_b32 exec_lo, exec_lo, s0
	s_mov_b32 s0, 0
	s_mov_b32 s1, 0
	s_mov_b32 s3, exec_lo
	s_waitcnt lgkmcnt(0)
	buffer_gl0_inv
                                        ; implicit-def: $vgpr2
                                        ; implicit-def: $vgpr3
	v_cmpx_gt_u32_e32 5, v0
	s_xor_b32 s3, exec_lo, s3
; %bb.20:
	v_mad_u32_u24 v2, v0, 5, 1
	v_lshl_add_u32 v3, v0, 4, v1
	s_mov_b32 s1, exec_lo
; %bb.21:
	s_or_b32 exec_lo, exec_lo, s3
	s_delay_alu instid0(SALU_CYCLE_1)
	s_and_b32 vcc_lo, exec_lo, s0
	s_cbranch_vccnz .LBB27_23
	s_branch .LBB27_32
.LBB27_22:
	s_mov_b32 s1, 0
                                        ; implicit-def: $vgpr2
                                        ; implicit-def: $vgpr3
	s_cbranch_execz .LBB27_32
.LBB27_23:
	v_cmp_gt_u32_e32 vcc_lo, 10, v0
	s_and_saveexec_b32 s0, vcc_lo
	s_cbranch_execz .LBB27_25
; %bb.24:
	ds_load_2addr_b32 v[2:3], v1 offset1:40
	s_waitcnt lgkmcnt(0)
	v_add_f32_e32 v2, v3, v2
	ds_store_b32 v1, v2
.LBB27_25:
	s_or_b32 exec_lo, exec_lo, s0
	s_delay_alu instid0(SALU_CYCLE_1)
	s_mov_b32 s3, exec_lo
	s_waitcnt lgkmcnt(0)
	buffer_gl0_inv
	v_cmpx_gt_u32_e32 20, v0
	s_cbranch_execz .LBB27_27
; %bb.26:
	ds_load_2addr_b32 v[2:3], v1 offset1:20
	s_waitcnt lgkmcnt(0)
	v_add_f32_e32 v2, v3, v2
	ds_store_b32 v1, v2
.LBB27_27:
	s_or_b32 exec_lo, exec_lo, s3
	s_waitcnt lgkmcnt(0)
	buffer_gl0_inv
	s_and_saveexec_b32 s0, vcc_lo
	s_cbranch_execz .LBB27_29
; %bb.28:
	ds_load_2addr_b32 v[2:3], v1 offset1:10
	s_waitcnt lgkmcnt(0)
	v_add_f32_e32 v2, v3, v2
	ds_store_b32 v1, v2
.LBB27_29:
	s_or_b32 exec_lo, exec_lo, s0
	s_delay_alu instid0(SALU_CYCLE_1)
	s_mov_b32 s0, exec_lo
	s_waitcnt lgkmcnt(0)
	buffer_gl0_inv
                                        ; implicit-def: $vgpr2
	v_cmpx_gt_u32_e32 5, v0
; %bb.30:
	v_add_nc_u32_e32 v2, 5, v0
	s_or_b32 s1, s1, exec_lo
                                        ; implicit-def: $vgpr6
; %bb.31:
	s_or_b32 exec_lo, exec_lo, s0
	v_mov_b32_e32 v3, v1
.LBB27_32:
	s_and_saveexec_b32 s0, s1
	s_cbranch_execz .LBB27_34
; %bb.33:
	v_lshlrev_b32_e32 v1, 2, v2
	ds_load_b32 v2, v3
	ds_load_b32 v1, v1
	s_waitcnt lgkmcnt(0)
	v_add_f32_e32 v6, v2, v1
.LBB27_34:
	s_or_b32 exec_lo, exec_lo, s0
	s_delay_alu instid0(SALU_CYCLE_1)
	s_mov_b32 s0, exec_lo
	v_cmpx_gt_u32_e32 5, v0
	s_cbranch_execz .LBB27_38
; %bb.35:
	v_cmp_eq_f32_e64 s0, s2, 0
	v_mul_f32_e32 v1, s10, v6
	s_delay_alu instid0(VALU_DEP_2)
	s_and_b32 vcc_lo, exec_lo, s0
	s_mov_b32 s0, 0
	s_cbranch_vccz .LBB27_39
; %bb.36:
	s_delay_alu instid0(VALU_DEP_1) | instskip(SKIP_1) | instid1(VALU_DEP_1)
	v_mad_u64_u32 v[2:3], null, s8, 5, v[0:1]
	v_mov_b32_e32 v3, 0
	v_lshlrev_b64 v[2:3], 2, v[2:3]
	s_delay_alu instid0(VALU_DEP_1) | instskip(NEXT) | instid1(VALU_DEP_2)
	v_add_co_u32 v2, vcc_lo, s12, v2
	v_add_co_ci_u32_e32 v3, vcc_lo, s13, v3, vcc_lo
	global_store_b32 v[2:3], v1, off
	s_and_not1_b32 vcc_lo, exec_lo, s0
	s_cbranch_vccnz .LBB27_38
.LBB27_37:
	v_mad_u64_u32 v[2:3], null, s8, 5, v[0:1]
	v_mov_b32_e32 v3, 0
	s_delay_alu instid0(VALU_DEP_1) | instskip(NEXT) | instid1(VALU_DEP_1)
	v_lshlrev_b64 v[2:3], 2, v[2:3]
	v_add_co_u32 v2, vcc_lo, s12, v2
	s_delay_alu instid0(VALU_DEP_2)
	v_add_co_ci_u32_e32 v3, vcc_lo, s13, v3, vcc_lo
	global_load_b32 v0, v[2:3], off
	s_waitcnt vmcnt(0)
	v_fmac_f32_e32 v1, s2, v0
	global_store_b32 v[2:3], v1, off
.LBB27_38:
	s_nop 0
	s_sendmsg sendmsg(MSG_DEALLOC_VGPRS)
	s_endpgm
.LBB27_39:
	s_branch .LBB27_37
	.section	.rodata,"a",@progbits
	.p2align	6, 0x0
	.amdhsa_kernel _ZN9rocsparseL18bsrxmvn_5x5_kernelILj50Efii18rocsparse_bfloat16S1_fEEvT2_20rocsparse_direction_NS_24const_host_device_scalarIT0_EES2_PKS2_PKT1_SB_S8_PKT3_PKT4_S6_PT5_21rocsparse_index_base_b
		.amdhsa_group_segment_fixed_size 200
		.amdhsa_private_segment_fixed_size 0
		.amdhsa_kernarg_size 96
		.amdhsa_user_sgpr_count 15
		.amdhsa_user_sgpr_dispatch_ptr 0
		.amdhsa_user_sgpr_queue_ptr 0
		.amdhsa_user_sgpr_kernarg_segment_ptr 1
		.amdhsa_user_sgpr_dispatch_id 0
		.amdhsa_user_sgpr_private_segment_size 0
		.amdhsa_wavefront_size32 1
		.amdhsa_uses_dynamic_stack 0
		.amdhsa_enable_private_segment 0
		.amdhsa_system_sgpr_workgroup_id_x 1
		.amdhsa_system_sgpr_workgroup_id_y 0
		.amdhsa_system_sgpr_workgroup_id_z 0
		.amdhsa_system_sgpr_workgroup_info 0
		.amdhsa_system_vgpr_workitem_id 0
		.amdhsa_next_free_vgpr 11
		.amdhsa_next_free_sgpr 16
		.amdhsa_reserve_vcc 1
		.amdhsa_float_round_mode_32 0
		.amdhsa_float_round_mode_16_64 0
		.amdhsa_float_denorm_mode_32 3
		.amdhsa_float_denorm_mode_16_64 3
		.amdhsa_dx10_clamp 1
		.amdhsa_ieee_mode 1
		.amdhsa_fp16_overflow 0
		.amdhsa_workgroup_processor_mode 1
		.amdhsa_memory_ordered 1
		.amdhsa_forward_progress 0
		.amdhsa_shared_vgpr_count 0
		.amdhsa_exception_fp_ieee_invalid_op 0
		.amdhsa_exception_fp_denorm_src 0
		.amdhsa_exception_fp_ieee_div_zero 0
		.amdhsa_exception_fp_ieee_overflow 0
		.amdhsa_exception_fp_ieee_underflow 0
		.amdhsa_exception_fp_ieee_inexact 0
		.amdhsa_exception_int_div_zero 0
	.end_amdhsa_kernel
	.section	.text._ZN9rocsparseL18bsrxmvn_5x5_kernelILj50Efii18rocsparse_bfloat16S1_fEEvT2_20rocsparse_direction_NS_24const_host_device_scalarIT0_EES2_PKS2_PKT1_SB_S8_PKT3_PKT4_S6_PT5_21rocsparse_index_base_b,"axG",@progbits,_ZN9rocsparseL18bsrxmvn_5x5_kernelILj50Efii18rocsparse_bfloat16S1_fEEvT2_20rocsparse_direction_NS_24const_host_device_scalarIT0_EES2_PKS2_PKT1_SB_S8_PKT3_PKT4_S6_PT5_21rocsparse_index_base_b,comdat
.Lfunc_end27:
	.size	_ZN9rocsparseL18bsrxmvn_5x5_kernelILj50Efii18rocsparse_bfloat16S1_fEEvT2_20rocsparse_direction_NS_24const_host_device_scalarIT0_EES2_PKS2_PKT1_SB_S8_PKT3_PKT4_S6_PT5_21rocsparse_index_base_b, .Lfunc_end27-_ZN9rocsparseL18bsrxmvn_5x5_kernelILj50Efii18rocsparse_bfloat16S1_fEEvT2_20rocsparse_direction_NS_24const_host_device_scalarIT0_EES2_PKS2_PKT1_SB_S8_PKT3_PKT4_S6_PT5_21rocsparse_index_base_b
                                        ; -- End function
	.section	.AMDGPU.csdata,"",@progbits
; Kernel info:
; codeLenInByte = 1360
; NumSgprs: 18
; NumVgprs: 11
; ScratchSize: 0
; MemoryBound: 0
; FloatMode: 240
; IeeeMode: 1
; LDSByteSize: 200 bytes/workgroup (compile time only)
; SGPRBlocks: 2
; VGPRBlocks: 1
; NumSGPRsForWavesPerEU: 18
; NumVGPRsForWavesPerEU: 11
; Occupancy: 16
; WaveLimiterHint : 1
; COMPUTE_PGM_RSRC2:SCRATCH_EN: 0
; COMPUTE_PGM_RSRC2:USER_SGPR: 15
; COMPUTE_PGM_RSRC2:TRAP_HANDLER: 0
; COMPUTE_PGM_RSRC2:TGID_X_EN: 1
; COMPUTE_PGM_RSRC2:TGID_Y_EN: 0
; COMPUTE_PGM_RSRC2:TGID_Z_EN: 0
; COMPUTE_PGM_RSRC2:TIDIG_COMP_CNT: 0
	.section	.text._ZN9rocsparseL18bsrxmvn_5x5_kernelILj50Efli18rocsparse_bfloat16S1_fEEvT2_20rocsparse_direction_NS_24const_host_device_scalarIT0_EES2_PKS2_PKT1_SB_S8_PKT3_PKT4_S6_PT5_21rocsparse_index_base_b,"axG",@progbits,_ZN9rocsparseL18bsrxmvn_5x5_kernelILj50Efli18rocsparse_bfloat16S1_fEEvT2_20rocsparse_direction_NS_24const_host_device_scalarIT0_EES2_PKS2_PKT1_SB_S8_PKT3_PKT4_S6_PT5_21rocsparse_index_base_b,comdat
	.globl	_ZN9rocsparseL18bsrxmvn_5x5_kernelILj50Efli18rocsparse_bfloat16S1_fEEvT2_20rocsparse_direction_NS_24const_host_device_scalarIT0_EES2_PKS2_PKT1_SB_S8_PKT3_PKT4_S6_PT5_21rocsparse_index_base_b ; -- Begin function _ZN9rocsparseL18bsrxmvn_5x5_kernelILj50Efli18rocsparse_bfloat16S1_fEEvT2_20rocsparse_direction_NS_24const_host_device_scalarIT0_EES2_PKS2_PKT1_SB_S8_PKT3_PKT4_S6_PT5_21rocsparse_index_base_b
	.p2align	8
	.type	_ZN9rocsparseL18bsrxmvn_5x5_kernelILj50Efli18rocsparse_bfloat16S1_fEEvT2_20rocsparse_direction_NS_24const_host_device_scalarIT0_EES2_PKS2_PKT1_SB_S8_PKT3_PKT4_S6_PT5_21rocsparse_index_base_b,@function
_ZN9rocsparseL18bsrxmvn_5x5_kernelILj50Efli18rocsparse_bfloat16S1_fEEvT2_20rocsparse_direction_NS_24const_host_device_scalarIT0_EES2_PKS2_PKT1_SB_S8_PKT3_PKT4_S6_PT5_21rocsparse_index_base_b: ; @_ZN9rocsparseL18bsrxmvn_5x5_kernelILj50Efli18rocsparse_bfloat16S1_fEEvT2_20rocsparse_direction_NS_24const_host_device_scalarIT0_EES2_PKS2_PKT1_SB_S8_PKT3_PKT4_S6_PT5_21rocsparse_index_base_b
; %bb.0:
	s_mov_b32 s10, s15
	s_clause 0x2
	s_load_b64 s[14:15], s[0:1], 0x58
	s_load_b64 s[12:13], s[0:1], 0x8
	;; [unrolled: 1-line block ×3, first 2 shown]
	s_waitcnt lgkmcnt(0)
	s_bitcmp1_b32 s15, 0
	s_cselect_b32 s2, -1, 0
	s_delay_alu instid0(SALU_CYCLE_1)
	s_and_b32 vcc_lo, exec_lo, s2
	s_xor_b32 s2, s2, -1
	s_cbranch_vccnz .LBB28_2
; %bb.1:
	s_load_b32 s12, s[12:13], 0x0
.LBB28_2:
	s_and_not1_b32 vcc_lo, exec_lo, s2
	s_cbranch_vccnz .LBB28_4
; %bb.3:
	s_load_b32 s8, s[8:9], 0x0
.LBB28_4:
	s_waitcnt lgkmcnt(0)
	v_cmp_neq_f32_e64 s2, s12, 0
	v_cmp_neq_f32_e64 s3, s8, 1.0
	s_delay_alu instid0(VALU_DEP_1) | instskip(NEXT) | instid1(SALU_CYCLE_1)
	s_or_b32 s2, s2, s3
	s_and_not1_b32 vcc_lo, exec_lo, s2
	s_cbranch_vccnz .LBB28_38
; %bb.5:
	s_clause 0x1
	s_load_b128 s[4:7], s[0:1], 0x18
	s_load_b64 s[16:17], s[0:1], 0x28
	s_waitcnt lgkmcnt(0)
	s_cmp_eq_u64 s[4:5], 0
	s_cbranch_scc1 .LBB28_7
; %bb.6:
	s_ashr_i32 s11, s10, 31
	s_delay_alu instid0(SALU_CYCLE_1) | instskip(NEXT) | instid1(SALU_CYCLE_1)
	s_lshl_b64 s[2:3], s[10:11], 2
	s_add_u32 s2, s4, s2
	s_addc_u32 s3, s5, s3
	s_load_b32 s2, s[2:3], 0x0
	s_waitcnt lgkmcnt(0)
	s_sub_i32 s10, s2, s14
.LBB28_7:
	s_load_b32 s3, s[0:1], 0x4
	v_mul_u32_u24_e32 v1, 0x3334, v0
	v_mov_b32_e32 v2, 0
	s_delay_alu instid0(VALU_DEP_2) | instskip(NEXT) | instid1(VALU_DEP_1)
	v_lshrrev_b32_e32 v3, 16, v1
	v_mul_lo_u16 v1, v3, 5
	s_delay_alu instid0(VALU_DEP_1)
	v_sub_nc_u16 v7, v0, v1
	s_waitcnt lgkmcnt(0)
	s_cmp_eq_u32 s3, 1
	s_cselect_b32 s2, -1, 0
	s_cmp_lg_u32 s3, 1
	s_cselect_b32 s9, -1, 0
	s_ashr_i32 s11, s10, 31
	s_delay_alu instid0(SALU_CYCLE_1) | instskip(NEXT) | instid1(SALU_CYCLE_1)
	s_lshl_b64 s[4:5], s[10:11], 3
	s_add_u32 s6, s6, s4
	s_addc_u32 s7, s7, s5
	s_add_u32 s3, s6, 8
	s_addc_u32 s11, s7, 0
	s_add_u32 s4, s16, s4
	s_addc_u32 s5, s17, s5
	s_cmp_eq_u64 s[16:17], 0
	s_cselect_b32 s5, s11, s5
	s_cselect_b32 s4, s3, s4
	s_load_b64 s[16:17], s[6:7], 0x0
	s_load_b64 s[6:7], s[4:5], 0x0
	;; [unrolled: 1-line block ×3, first 2 shown]
	s_waitcnt lgkmcnt(0)
	v_cmp_ge_i64_e64 s3, s[16:17], s[6:7]
	s_delay_alu instid0(VALU_DEP_1)
	s_and_b32 vcc_lo, exec_lo, s3
	s_cbranch_vccnz .LBB28_12
; %bb.8:
	v_mul_lo_u16 v4, v3, 52
	v_dual_mov_b32 v2, 0 :: v_dual_lshlrev_b32 v1, 1, v0
	s_clause 0x1
	s_load_b128 s[20:23], s[0:1], 0x30
	s_load_b64 s[0:1], s[0:1], 0x40
	v_and_b32_e32 v9, 0xffff, v7
	v_lshrrev_b16 v6, 8, v4
	s_mul_i32 s11, s14, 50
	v_mad_u64_u32 v[4:5], null, s16, 50, v[1:2]
	v_and_b32_e32 v1, 0xffff, v0
	s_delay_alu instid0(VALU_DEP_3) | instskip(SKIP_4) | instid1(VALU_DEP_4)
	v_mul_lo_u16 v6, v6, 5
	s_mul_hi_u32 s3, s14, 50
	s_sub_u32 s6, s6, s14
	s_subb_u32 s7, s7, 0
	v_mul_u32_u24_e32 v8, 0xa3e, v1
	v_mov_b32_e32 v1, v5
	v_sub_nc_u16 v3, v3, v6
	s_delay_alu instid0(VALU_DEP_3) | instskip(NEXT) | instid1(VALU_DEP_3)
	v_lshrrev_b32_e32 v8, 16, v8
	v_mad_u64_u32 v[5:6], null, s17, 50, v[1:2]
	s_delay_alu instid0(VALU_DEP_3) | instskip(NEXT) | instid1(VALU_DEP_3)
	v_and_b32_e32 v1, 0xff, v3
	v_add_co_u32 v3, s13, s16, v8
	s_delay_alu instid0(VALU_DEP_1) | instskip(NEXT) | instid1(VALU_DEP_3)
	v_add_co_ci_u32_e64 v6, null, s17, 0, s13
	v_cndmask_b32_e64 v1, v9, v1, s2
	v_mov_b32_e32 v9, v5
	s_delay_alu instid0(VALU_DEP_4) | instskip(NEXT) | instid1(VALU_DEP_4)
	v_sub_co_u32 v5, vcc_lo, v3, s14
	v_subrev_co_ci_u32_e32 v6, vcc_lo, 0, v6, vcc_lo
	v_sub_co_u32 v3, vcc_lo, v4, s11
	s_delay_alu instid0(VALU_DEP_4) | instskip(NEXT) | instid1(VALU_DEP_3)
	v_subrev_co_ci_u32_e32 v4, vcc_lo, s3, v9, vcc_lo
	v_lshlrev_b64 v[5:6], 2, v[5:6]
	s_waitcnt lgkmcnt(0)
	s_delay_alu instid0(VALU_DEP_3) | instskip(NEXT) | instid1(VALU_DEP_3)
	v_add_co_u32 v3, vcc_lo, s22, v3
	v_add_co_ci_u32_e32 v4, vcc_lo, s23, v4, vcc_lo
	s_sub_u32 s2, s16, s14
	s_delay_alu instid0(VALU_DEP_3)
	v_add_co_u32 v5, vcc_lo, s20, v5
	v_add_co_ci_u32_e32 v6, vcc_lo, s21, v6, vcc_lo
	s_subb_u32 s3, s17, 0
	s_set_inst_prefetch_distance 0x1
	s_branch .LBB28_10
	.p2align	6
.LBB28_9:                               ;   in Loop: Header=BB28_10 Depth=1
	s_or_b32 exec_lo, exec_lo, s11
	s_add_u32 s2, s2, 2
	s_addc_u32 s3, s3, 0
	v_add_co_u32 v3, vcc_lo, 0x64, v3
	v_cmp_ge_i64_e64 s11, s[2:3], s[6:7]
	v_add_co_ci_u32_e32 v4, vcc_lo, 0, v4, vcc_lo
	v_add_co_u32 v5, vcc_lo, v5, 8
	v_add_co_ci_u32_e32 v6, vcc_lo, 0, v6, vcc_lo
	s_delay_alu instid0(VALU_DEP_4)
	s_and_b32 vcc_lo, exec_lo, s11
	s_cbranch_vccnz .LBB28_12
.LBB28_10:                              ; =>This Inner Loop Header: Depth=1
	v_add_co_u32 v9, s11, v8, s2
	s_delay_alu instid0(VALU_DEP_1) | instskip(SKIP_1) | instid1(VALU_DEP_1)
	v_add_co_ci_u32_e64 v10, null, 0, s3, s11
	s_mov_b32 s11, exec_lo
	v_cmpx_gt_i64_e64 s[6:7], v[9:10]
	s_cbranch_execz .LBB28_9
; %bb.11:                               ;   in Loop: Header=BB28_10 Depth=1
	global_load_b32 v9, v[5:6], off
	s_waitcnt vmcnt(0)
	v_subrev_nc_u32_e32 v11, s14, v9
	s_delay_alu instid0(VALU_DEP_1) | instskip(NEXT) | instid1(VALU_DEP_1)
	v_mad_u64_u32 v[9:10], null, v11, 5, v[1:2]
	v_ashrrev_i32_e32 v10, 31, v9
	s_delay_alu instid0(VALU_DEP_1) | instskip(NEXT) | instid1(VALU_DEP_1)
	v_lshlrev_b64 v[9:10], 1, v[9:10]
	v_add_co_u32 v9, vcc_lo, s0, v9
	s_delay_alu instid0(VALU_DEP_2)
	v_add_co_ci_u32_e32 v10, vcc_lo, s1, v10, vcc_lo
	global_load_u16 v11, v[3:4], off
	global_load_u16 v9, v[9:10], off
	s_waitcnt vmcnt(1)
	v_lshlrev_b32_e32 v10, 16, v11
	s_waitcnt vmcnt(0)
	v_lshlrev_b32_e32 v9, 16, v9
	s_delay_alu instid0(VALU_DEP_1)
	v_fmac_f32_e32 v2, v10, v9
	s_branch .LBB28_9
.LBB28_12:
	s_set_inst_prefetch_distance 0x2
	v_lshlrev_b32_e32 v1, 2, v0
	s_and_b32 vcc_lo, exec_lo, s9
	ds_store_b32 v1, v2
	s_waitcnt lgkmcnt(0)
	buffer_gl0_inv
	s_cbranch_vccz .LBB28_22
; %bb.13:
	s_mov_b32 s0, exec_lo
	v_cmpx_gt_u32_e32 25, v0
	s_cbranch_execz .LBB28_15
; %bb.14:
	ds_load_2addr_b32 v[3:4], v1 offset1:25
	s_waitcnt lgkmcnt(0)
	v_add_f32_e32 v3, v4, v3
	ds_store_b32 v1, v3
.LBB28_15:
	s_or_b32 exec_lo, exec_lo, s0
	s_delay_alu instid0(SALU_CYCLE_1)
	s_mov_b32 s0, exec_lo
	s_waitcnt lgkmcnt(0)
	buffer_gl0_inv
	v_cmpx_eq_u16_e32 0, v7
	s_cbranch_execz .LBB28_17
; %bb.16:
	ds_load_2addr_b32 v[3:4], v1 offset1:4
	s_waitcnt lgkmcnt(0)
	v_add_f32_e32 v3, v4, v3
	ds_store_b32 v1, v3
.LBB28_17:
	s_or_b32 exec_lo, exec_lo, s0
	s_delay_alu instid0(SALU_CYCLE_1)
	s_mov_b32 s0, exec_lo
	s_waitcnt lgkmcnt(0)
	buffer_gl0_inv
	v_cmpx_gt_u16_e32 2, v7
	s_cbranch_execz .LBB28_19
; %bb.18:
	ds_load_2addr_b32 v[3:4], v1 offset1:2
	s_waitcnt lgkmcnt(0)
	v_add_f32_e32 v3, v4, v3
	ds_store_b32 v1, v3
.LBB28_19:
	s_or_b32 exec_lo, exec_lo, s0
	s_mov_b32 s0, 0
	s_mov_b32 s1, 0
	s_mov_b32 s2, exec_lo
	s_waitcnt lgkmcnt(0)
	buffer_gl0_inv
                                        ; implicit-def: $vgpr3
                                        ; implicit-def: $vgpr4
	v_cmpx_gt_u32_e32 5, v0
	s_xor_b32 s2, exec_lo, s2
; %bb.20:
	v_mad_u32_u24 v3, v0, 5, 1
	v_lshl_add_u32 v4, v0, 4, v1
	s_mov_b32 s1, exec_lo
; %bb.21:
	s_or_b32 exec_lo, exec_lo, s2
	s_delay_alu instid0(SALU_CYCLE_1)
	s_and_b32 vcc_lo, exec_lo, s0
	s_cbranch_vccnz .LBB28_23
	s_branch .LBB28_32
.LBB28_22:
	s_mov_b32 s1, 0
                                        ; implicit-def: $vgpr3
                                        ; implicit-def: $vgpr4
	s_cbranch_execz .LBB28_32
.LBB28_23:
	v_cmp_gt_u32_e32 vcc_lo, 10, v0
	s_and_saveexec_b32 s0, vcc_lo
	s_cbranch_execz .LBB28_25
; %bb.24:
	ds_load_2addr_b32 v[3:4], v1 offset1:40
	s_waitcnt lgkmcnt(0)
	v_add_f32_e32 v3, v4, v3
	ds_store_b32 v1, v3
.LBB28_25:
	s_or_b32 exec_lo, exec_lo, s0
	s_delay_alu instid0(SALU_CYCLE_1)
	s_mov_b32 s2, exec_lo
	s_waitcnt lgkmcnt(0)
	buffer_gl0_inv
	v_cmpx_gt_u32_e32 20, v0
	s_cbranch_execz .LBB28_27
; %bb.26:
	ds_load_2addr_b32 v[3:4], v1 offset1:20
	s_waitcnt lgkmcnt(0)
	v_add_f32_e32 v3, v4, v3
	ds_store_b32 v1, v3
.LBB28_27:
	s_or_b32 exec_lo, exec_lo, s2
	s_waitcnt lgkmcnt(0)
	buffer_gl0_inv
	s_and_saveexec_b32 s0, vcc_lo
	s_cbranch_execz .LBB28_29
; %bb.28:
	ds_load_2addr_b32 v[3:4], v1 offset1:10
	s_waitcnt lgkmcnt(0)
	v_add_f32_e32 v3, v4, v3
	ds_store_b32 v1, v3
.LBB28_29:
	s_or_b32 exec_lo, exec_lo, s0
	s_delay_alu instid0(SALU_CYCLE_1)
	s_mov_b32 s0, exec_lo
	s_waitcnt lgkmcnt(0)
	buffer_gl0_inv
                                        ; implicit-def: $vgpr3
	v_cmpx_gt_u32_e32 5, v0
; %bb.30:
	v_add_nc_u32_e32 v3, 5, v0
	s_or_b32 s1, s1, exec_lo
                                        ; implicit-def: $vgpr2
; %bb.31:
	s_or_b32 exec_lo, exec_lo, s0
	v_mov_b32_e32 v4, v1
.LBB28_32:
	s_and_saveexec_b32 s0, s1
	s_cbranch_execz .LBB28_34
; %bb.33:
	v_lshlrev_b32_e32 v1, 2, v3
	ds_load_b32 v2, v4
	ds_load_b32 v1, v1
	s_waitcnt lgkmcnt(0)
	v_add_f32_e32 v2, v2, v1
.LBB28_34:
	s_or_b32 exec_lo, exec_lo, s0
	s_delay_alu instid0(SALU_CYCLE_1)
	s_mov_b32 s0, exec_lo
	v_cmpx_gt_u32_e32 5, v0
	s_cbranch_execz .LBB28_38
; %bb.35:
	v_cmp_eq_f32_e64 s0, s8, 0
	v_mul_f32_e32 v1, s12, v2
	s_delay_alu instid0(VALU_DEP_2)
	s_and_b32 vcc_lo, exec_lo, s0
	s_mov_b32 s0, 0
	s_cbranch_vccz .LBB28_39
; %bb.36:
	s_delay_alu instid0(VALU_DEP_1) | instskip(SKIP_1) | instid1(VALU_DEP_1)
	v_mad_u64_u32 v[2:3], null, s10, 5, v[0:1]
	v_mov_b32_e32 v3, 0
	v_lshlrev_b64 v[2:3], 2, v[2:3]
	s_delay_alu instid0(VALU_DEP_1) | instskip(NEXT) | instid1(VALU_DEP_2)
	v_add_co_u32 v2, vcc_lo, s4, v2
	v_add_co_ci_u32_e32 v3, vcc_lo, s5, v3, vcc_lo
	global_store_b32 v[2:3], v1, off
	s_and_not1_b32 vcc_lo, exec_lo, s0
	s_cbranch_vccnz .LBB28_38
.LBB28_37:
	v_mad_u64_u32 v[2:3], null, s10, 5, v[0:1]
	v_mov_b32_e32 v3, 0
	s_delay_alu instid0(VALU_DEP_1) | instskip(NEXT) | instid1(VALU_DEP_1)
	v_lshlrev_b64 v[2:3], 2, v[2:3]
	v_add_co_u32 v2, vcc_lo, s4, v2
	s_delay_alu instid0(VALU_DEP_2)
	v_add_co_ci_u32_e32 v3, vcc_lo, s5, v3, vcc_lo
	global_load_b32 v0, v[2:3], off
	s_waitcnt vmcnt(0)
	v_fmac_f32_e32 v1, s8, v0
	global_store_b32 v[2:3], v1, off
.LBB28_38:
	s_nop 0
	s_sendmsg sendmsg(MSG_DEALLOC_VGPRS)
	s_endpgm
.LBB28_39:
	s_branch .LBB28_37
	.section	.rodata,"a",@progbits
	.p2align	6, 0x0
	.amdhsa_kernel _ZN9rocsparseL18bsrxmvn_5x5_kernelILj50Efli18rocsparse_bfloat16S1_fEEvT2_20rocsparse_direction_NS_24const_host_device_scalarIT0_EES2_PKS2_PKT1_SB_S8_PKT3_PKT4_S6_PT5_21rocsparse_index_base_b
		.amdhsa_group_segment_fixed_size 200
		.amdhsa_private_segment_fixed_size 0
		.amdhsa_kernarg_size 96
		.amdhsa_user_sgpr_count 15
		.amdhsa_user_sgpr_dispatch_ptr 0
		.amdhsa_user_sgpr_queue_ptr 0
		.amdhsa_user_sgpr_kernarg_segment_ptr 1
		.amdhsa_user_sgpr_dispatch_id 0
		.amdhsa_user_sgpr_private_segment_size 0
		.amdhsa_wavefront_size32 1
		.amdhsa_uses_dynamic_stack 0
		.amdhsa_enable_private_segment 0
		.amdhsa_system_sgpr_workgroup_id_x 1
		.amdhsa_system_sgpr_workgroup_id_y 0
		.amdhsa_system_sgpr_workgroup_id_z 0
		.amdhsa_system_sgpr_workgroup_info 0
		.amdhsa_system_vgpr_workitem_id 0
		.amdhsa_next_free_vgpr 12
		.amdhsa_next_free_sgpr 24
		.amdhsa_reserve_vcc 1
		.amdhsa_float_round_mode_32 0
		.amdhsa_float_round_mode_16_64 0
		.amdhsa_float_denorm_mode_32 3
		.amdhsa_float_denorm_mode_16_64 3
		.amdhsa_dx10_clamp 1
		.amdhsa_ieee_mode 1
		.amdhsa_fp16_overflow 0
		.amdhsa_workgroup_processor_mode 1
		.amdhsa_memory_ordered 1
		.amdhsa_forward_progress 0
		.amdhsa_shared_vgpr_count 0
		.amdhsa_exception_fp_ieee_invalid_op 0
		.amdhsa_exception_fp_denorm_src 0
		.amdhsa_exception_fp_ieee_div_zero 0
		.amdhsa_exception_fp_ieee_overflow 0
		.amdhsa_exception_fp_ieee_underflow 0
		.amdhsa_exception_fp_ieee_inexact 0
		.amdhsa_exception_int_div_zero 0
	.end_amdhsa_kernel
	.section	.text._ZN9rocsparseL18bsrxmvn_5x5_kernelILj50Efli18rocsparse_bfloat16S1_fEEvT2_20rocsparse_direction_NS_24const_host_device_scalarIT0_EES2_PKS2_PKT1_SB_S8_PKT3_PKT4_S6_PT5_21rocsparse_index_base_b,"axG",@progbits,_ZN9rocsparseL18bsrxmvn_5x5_kernelILj50Efli18rocsparse_bfloat16S1_fEEvT2_20rocsparse_direction_NS_24const_host_device_scalarIT0_EES2_PKS2_PKT1_SB_S8_PKT3_PKT4_S6_PT5_21rocsparse_index_base_b,comdat
.Lfunc_end28:
	.size	_ZN9rocsparseL18bsrxmvn_5x5_kernelILj50Efli18rocsparse_bfloat16S1_fEEvT2_20rocsparse_direction_NS_24const_host_device_scalarIT0_EES2_PKS2_PKT1_SB_S8_PKT3_PKT4_S6_PT5_21rocsparse_index_base_b, .Lfunc_end28-_ZN9rocsparseL18bsrxmvn_5x5_kernelILj50Efli18rocsparse_bfloat16S1_fEEvT2_20rocsparse_direction_NS_24const_host_device_scalarIT0_EES2_PKS2_PKT1_SB_S8_PKT3_PKT4_S6_PT5_21rocsparse_index_base_b
                                        ; -- End function
	.section	.AMDGPU.csdata,"",@progbits
; Kernel info:
; codeLenInByte = 1492
; NumSgprs: 26
; NumVgprs: 12
; ScratchSize: 0
; MemoryBound: 0
; FloatMode: 240
; IeeeMode: 1
; LDSByteSize: 200 bytes/workgroup (compile time only)
; SGPRBlocks: 3
; VGPRBlocks: 1
; NumSGPRsForWavesPerEU: 26
; NumVGPRsForWavesPerEU: 12
; Occupancy: 16
; WaveLimiterHint : 1
; COMPUTE_PGM_RSRC2:SCRATCH_EN: 0
; COMPUTE_PGM_RSRC2:USER_SGPR: 15
; COMPUTE_PGM_RSRC2:TRAP_HANDLER: 0
; COMPUTE_PGM_RSRC2:TGID_X_EN: 1
; COMPUTE_PGM_RSRC2:TGID_Y_EN: 0
; COMPUTE_PGM_RSRC2:TGID_Z_EN: 0
; COMPUTE_PGM_RSRC2:TIDIG_COMP_CNT: 0
	.section	.text._ZN9rocsparseL18bsrxmvn_5x5_kernelILj50Efll18rocsparse_bfloat16S1_fEEvT2_20rocsparse_direction_NS_24const_host_device_scalarIT0_EES2_PKS2_PKT1_SB_S8_PKT3_PKT4_S6_PT5_21rocsparse_index_base_b,"axG",@progbits,_ZN9rocsparseL18bsrxmvn_5x5_kernelILj50Efll18rocsparse_bfloat16S1_fEEvT2_20rocsparse_direction_NS_24const_host_device_scalarIT0_EES2_PKS2_PKT1_SB_S8_PKT3_PKT4_S6_PT5_21rocsparse_index_base_b,comdat
	.globl	_ZN9rocsparseL18bsrxmvn_5x5_kernelILj50Efll18rocsparse_bfloat16S1_fEEvT2_20rocsparse_direction_NS_24const_host_device_scalarIT0_EES2_PKS2_PKT1_SB_S8_PKT3_PKT4_S6_PT5_21rocsparse_index_base_b ; -- Begin function _ZN9rocsparseL18bsrxmvn_5x5_kernelILj50Efll18rocsparse_bfloat16S1_fEEvT2_20rocsparse_direction_NS_24const_host_device_scalarIT0_EES2_PKS2_PKT1_SB_S8_PKT3_PKT4_S6_PT5_21rocsparse_index_base_b
	.p2align	8
	.type	_ZN9rocsparseL18bsrxmvn_5x5_kernelILj50Efll18rocsparse_bfloat16S1_fEEvT2_20rocsparse_direction_NS_24const_host_device_scalarIT0_EES2_PKS2_PKT1_SB_S8_PKT3_PKT4_S6_PT5_21rocsparse_index_base_b,@function
_ZN9rocsparseL18bsrxmvn_5x5_kernelILj50Efll18rocsparse_bfloat16S1_fEEvT2_20rocsparse_direction_NS_24const_host_device_scalarIT0_EES2_PKS2_PKT1_SB_S8_PKT3_PKT4_S6_PT5_21rocsparse_index_base_b: ; @_ZN9rocsparseL18bsrxmvn_5x5_kernelILj50Efll18rocsparse_bfloat16S1_fEEvT2_20rocsparse_direction_NS_24const_host_device_scalarIT0_EES2_PKS2_PKT1_SB_S8_PKT3_PKT4_S6_PT5_21rocsparse_index_base_b
; %bb.0:
	s_mov_b32 s10, s15
	s_clause 0x2
	s_load_b64 s[14:15], s[0:1], 0x60
	s_load_b64 s[12:13], s[0:1], 0x10
	;; [unrolled: 1-line block ×3, first 2 shown]
	s_waitcnt lgkmcnt(0)
	s_bitcmp1_b32 s15, 0
	s_cselect_b32 s2, -1, 0
	s_delay_alu instid0(SALU_CYCLE_1)
	s_and_b32 vcc_lo, exec_lo, s2
	s_xor_b32 s2, s2, -1
	s_cbranch_vccnz .LBB29_2
; %bb.1:
	s_load_b32 s12, s[12:13], 0x0
.LBB29_2:
	s_and_not1_b32 vcc_lo, exec_lo, s2
	s_cbranch_vccnz .LBB29_4
; %bb.3:
	s_load_b32 s8, s[8:9], 0x0
.LBB29_4:
	s_waitcnt lgkmcnt(0)
	v_cmp_neq_f32_e64 s2, s12, 0
	v_cmp_neq_f32_e64 s3, s8, 1.0
	s_mov_b32 s11, 0
	s_delay_alu instid0(VALU_DEP_1) | instskip(NEXT) | instid1(SALU_CYCLE_1)
	s_or_b32 s2, s2, s3
	s_and_not1_b32 vcc_lo, exec_lo, s2
	s_cbranch_vccnz .LBB29_41
; %bb.5:
	s_clause 0x1
	s_load_b128 s[4:7], s[0:1], 0x20
	s_load_b64 s[16:17], s[0:1], 0x30
	s_waitcnt lgkmcnt(0)
	s_cmp_eq_u64 s[4:5], 0
	s_cbranch_scc1 .LBB29_7
; %bb.6:
	s_lshl_b64 s[2:3], s[10:11], 3
	s_delay_alu instid0(SALU_CYCLE_1)
	s_add_u32 s2, s4, s2
	s_addc_u32 s3, s5, s3
	s_load_b64 s[2:3], s[2:3], 0x0
	s_waitcnt lgkmcnt(0)
	s_sub_u32 s10, s2, s14
	s_subb_u32 s11, s3, 0
.LBB29_7:
	s_load_b32 s3, s[0:1], 0x8
	v_mul_u32_u24_e32 v1, 0x3334, v0
	s_delay_alu instid0(VALU_DEP_1) | instskip(NEXT) | instid1(VALU_DEP_1)
	v_lshrrev_b32_e32 v2, 16, v1
	v_mul_lo_u16 v3, v2, 5
	s_waitcnt lgkmcnt(0)
	s_cmp_eq_u32 s3, 1
	s_cselect_b32 s2, -1, 0
	s_cmp_lg_u32 s3, 1
	s_cselect_b32 s9, -1, 0
	s_lshl_b64 s[4:5], s[10:11], 3
	s_delay_alu instid0(SALU_CYCLE_1)
	s_add_u32 s6, s6, s4
	s_addc_u32 s7, s7, s5
	s_add_u32 s3, s6, 8
	s_addc_u32 s13, s7, 0
	;; [unrolled: 2-line block ×3, first 2 shown]
	s_cmp_eq_u64 s[16:17], 0
	s_cselect_b32 s5, s13, s5
	s_cselect_b32 s4, s3, s4
	s_load_b64 s[6:7], s[6:7], 0x0
	s_load_b64 s[16:17], s[4:5], 0x0
	s_waitcnt lgkmcnt(0)
	v_cmp_lt_i64_e64 s3, s[6:7], s[16:17]
	s_delay_alu instid0(VALU_DEP_1)
	s_and_b32 vcc_lo, exec_lo, s3
	s_cbranch_vccnz .LBB29_9
; %bb.8:
	v_mov_b32_e32 v1, 0
	s_mov_b32 s3, 0
	s_branch .LBB29_10
.LBB29_9:
	s_mov_b32 s3, -1
.LBB29_10:
	s_load_b64 s[4:5], s[0:1], 0x58
	v_cndmask_b32_e64 v4, 0, 1, s3
	v_sub_nc_u16 v9, v0, v3
	v_mov_b32_e32 v8, s3
	s_delay_alu instid0(VALU_DEP_3)
	v_cmp_ne_u32_e32 vcc_lo, 1, v4
	s_cbranch_vccnz .LBB29_15
; %bb.11:
	v_mul_lo_u16 v3, v2, 52
	v_dual_mov_b32 v1, 0 :: v_dual_and_b32 v8, 0xffff, v0
	s_clause 0x1
	s_load_b64 s[18:19], s[0:1], 0x48
	s_load_b128 s[20:23], s[0:1], 0x38
	v_lshrrev_b16 v5, 8, v3
	v_dual_mov_b32 v4, v1 :: v_dual_lshlrev_b32 v3, 1, v0
	s_mul_hi_u32 s1, s14, 50
	s_sub_u32 s0, s16, s14
	s_delay_alu instid0(VALU_DEP_2) | instskip(NEXT) | instid1(VALU_DEP_2)
	v_mul_lo_u16 v7, v5, 5
	v_mad_u64_u32 v[5:6], null, s6, 50, v[3:4]
	v_mul_u32_u24_e32 v4, 0xa3e, v8
	s_delay_alu instid0(VALU_DEP_3) | instskip(SKIP_1) | instid1(VALU_DEP_3)
	v_sub_nc_u16 v2, v2, v7
	v_and_b32_e32 v3, 0xffff, v9
	v_lshrrev_b32_e32 v10, 16, v4
	s_delay_alu instid0(VALU_DEP_3) | instskip(NEXT) | instid1(VALU_DEP_1)
	v_dual_mov_b32 v2, v6 :: v_dual_and_b32 v7, 0xff, v2
	v_cndmask_b32_e64 v6, v3, v7, s2
	s_delay_alu instid0(VALU_DEP_2) | instskip(NEXT) | instid1(VALU_DEP_4)
	v_mad_u64_u32 v[3:4], null, s7, 50, v[2:3]
	v_add_co_u32 v4, s3, s6, v10
	s_delay_alu instid0(VALU_DEP_1) | instskip(NEXT) | instid1(VALU_DEP_4)
	v_add_co_ci_u32_e64 v7, null, s7, 0, s3
	v_lshlrev_b32_e32 v2, 1, v6
	s_delay_alu instid0(VALU_DEP_3) | instskip(SKIP_1) | instid1(VALU_DEP_4)
	v_sub_co_u32 v6, vcc_lo, v4, s14
	v_mov_b32_e32 v8, v3
	v_subrev_co_ci_u32_e32 v7, vcc_lo, 0, v7, vcc_lo
	s_mul_i32 s2, s14, 50
	s_waitcnt lgkmcnt(0)
	v_add_co_u32 v2, s3, s18, v2
	v_sub_co_u32 v4, vcc_lo, v5, s2
	v_subrev_co_ci_u32_e32 v5, vcc_lo, s1, v8, vcc_lo
	v_lshlrev_b64 v[6:7], 3, v[6:7]
	s_delay_alu instid0(VALU_DEP_3) | instskip(NEXT) | instid1(VALU_DEP_3)
	v_add_co_u32 v4, vcc_lo, s22, v4
	v_add_co_ci_u32_e32 v5, vcc_lo, s23, v5, vcc_lo
	v_add_co_ci_u32_e64 v3, null, s19, 0, s3
	s_delay_alu instid0(VALU_DEP_4)
	v_add_co_u32 v6, vcc_lo, s20, v6
	v_add_co_ci_u32_e32 v7, vcc_lo, s21, v7, vcc_lo
	v_mov_b32_e32 v8, v1
	s_subb_u32 s1, s17, 0
	s_sub_u32 s2, s6, s14
	s_subb_u32 s3, s7, 0
	s_set_inst_prefetch_distance 0x1
	s_branch .LBB29_13
	.p2align	6
.LBB29_12:                              ;   in Loop: Header=BB29_13 Depth=1
	s_or_b32 exec_lo, exec_lo, s6
	s_add_u32 s2, s2, 2
	s_addc_u32 s3, s3, 0
	v_add_co_u32 v4, vcc_lo, 0x64, v4
	v_cmp_ge_i64_e64 s6, s[2:3], s[0:1]
	v_add_co_ci_u32_e32 v5, vcc_lo, 0, v5, vcc_lo
	v_add_co_u32 v6, vcc_lo, v6, 16
	v_add_co_ci_u32_e32 v7, vcc_lo, 0, v7, vcc_lo
	s_delay_alu instid0(VALU_DEP_4)
	s_and_b32 vcc_lo, exec_lo, s6
	s_cbranch_vccnz .LBB29_15
.LBB29_13:                              ; =>This Inner Loop Header: Depth=1
	v_add_co_u32 v11, s6, v10, s2
	s_delay_alu instid0(VALU_DEP_1) | instskip(SKIP_1) | instid1(VALU_DEP_1)
	v_add_co_ci_u32_e64 v12, null, 0, s3, s6
	s_mov_b32 s6, exec_lo
	v_cmpx_gt_i64_e64 s[0:1], v[11:12]
	s_cbranch_execz .LBB29_12
; %bb.14:                               ;   in Loop: Header=BB29_13 Depth=1
	global_load_b64 v[11:12], v[6:7], off
	s_waitcnt vmcnt(0)
	v_sub_co_u32 v13, vcc_lo, v11, s14
	v_subrev_co_ci_u32_e32 v15, vcc_lo, 0, v12, vcc_lo
	s_delay_alu instid0(VALU_DEP_2) | instskip(NEXT) | instid1(VALU_DEP_1)
	v_mad_u64_u32 v[11:12], null, v13, 10, v[2:3]
	v_mad_u64_u32 v[13:14], null, v15, 10, v[12:13]
	s_delay_alu instid0(VALU_DEP_1)
	v_mov_b32_e32 v12, v13
	global_load_u16 v13, v[4:5], off
	global_load_u16 v11, v[11:12], off
	s_waitcnt vmcnt(1)
	v_lshlrev_b32_e32 v12, 16, v13
	s_waitcnt vmcnt(0)
	v_lshlrev_b32_e32 v11, 16, v11
	s_delay_alu instid0(VALU_DEP_1)
	v_fmac_f32_e32 v8, v12, v11
	s_branch .LBB29_12
.LBB29_15:
	s_set_inst_prefetch_distance 0x2
	v_lshlrev_b32_e32 v2, 2, v0
	s_and_b32 vcc_lo, exec_lo, s9
	ds_store_b32 v2, v8
	s_waitcnt lgkmcnt(0)
	buffer_gl0_inv
	s_cbranch_vccz .LBB29_25
; %bb.16:
	s_mov_b32 s0, exec_lo
	v_cmpx_gt_u32_e32 25, v0
	s_cbranch_execz .LBB29_18
; %bb.17:
	ds_load_2addr_b32 v[3:4], v2 offset1:25
	s_waitcnt lgkmcnt(0)
	v_add_f32_e32 v3, v4, v3
	ds_store_b32 v2, v3
.LBB29_18:
	s_or_b32 exec_lo, exec_lo, s0
	s_delay_alu instid0(SALU_CYCLE_1)
	s_mov_b32 s0, exec_lo
	s_waitcnt lgkmcnt(0)
	buffer_gl0_inv
	v_cmpx_eq_u16_e32 0, v9
	s_cbranch_execz .LBB29_20
; %bb.19:
	ds_load_2addr_b32 v[3:4], v2 offset1:4
	s_waitcnt lgkmcnt(0)
	v_add_f32_e32 v3, v4, v3
	ds_store_b32 v2, v3
.LBB29_20:
	s_or_b32 exec_lo, exec_lo, s0
	s_delay_alu instid0(SALU_CYCLE_1)
	s_mov_b32 s0, exec_lo
	s_waitcnt lgkmcnt(0)
	buffer_gl0_inv
	v_cmpx_gt_u16_e32 2, v9
	s_cbranch_execz .LBB29_22
; %bb.21:
	ds_load_2addr_b32 v[3:4], v2 offset1:2
	s_waitcnt lgkmcnt(0)
	v_add_f32_e32 v3, v4, v3
	ds_store_b32 v2, v3
.LBB29_22:
	s_or_b32 exec_lo, exec_lo, s0
	s_mov_b32 s0, 0
	s_mov_b32 s1, 0
	s_mov_b32 s2, exec_lo
	s_waitcnt lgkmcnt(0)
	buffer_gl0_inv
                                        ; implicit-def: $vgpr3
                                        ; implicit-def: $vgpr4
	v_cmpx_gt_u32_e32 5, v0
	s_xor_b32 s2, exec_lo, s2
; %bb.23:
	v_mad_u32_u24 v3, v0, 5, 1
	v_lshl_add_u32 v4, v0, 4, v2
	s_mov_b32 s1, exec_lo
; %bb.24:
	s_or_b32 exec_lo, exec_lo, s2
	s_delay_alu instid0(SALU_CYCLE_1)
	s_and_b32 vcc_lo, exec_lo, s0
	s_cbranch_vccnz .LBB29_26
	s_branch .LBB29_35
.LBB29_25:
	s_mov_b32 s1, 0
                                        ; implicit-def: $vgpr3
                                        ; implicit-def: $vgpr4
	s_cbranch_execz .LBB29_35
.LBB29_26:
	v_cmp_gt_u32_e32 vcc_lo, 10, v0
	s_and_saveexec_b32 s0, vcc_lo
	s_cbranch_execz .LBB29_28
; %bb.27:
	ds_load_2addr_b32 v[3:4], v2 offset1:40
	s_waitcnt lgkmcnt(0)
	v_add_f32_e32 v3, v4, v3
	ds_store_b32 v2, v3
.LBB29_28:
	s_or_b32 exec_lo, exec_lo, s0
	s_delay_alu instid0(SALU_CYCLE_1)
	s_mov_b32 s2, exec_lo
	s_waitcnt lgkmcnt(0)
	buffer_gl0_inv
	v_cmpx_gt_u32_e32 20, v0
	s_cbranch_execz .LBB29_30
; %bb.29:
	ds_load_2addr_b32 v[3:4], v2 offset1:20
	s_waitcnt lgkmcnt(0)
	v_add_f32_e32 v3, v4, v3
	ds_store_b32 v2, v3
.LBB29_30:
	s_or_b32 exec_lo, exec_lo, s2
	s_waitcnt lgkmcnt(0)
	buffer_gl0_inv
	s_and_saveexec_b32 s0, vcc_lo
	s_cbranch_execz .LBB29_32
; %bb.31:
	ds_load_2addr_b32 v[3:4], v2 offset1:10
	s_waitcnt lgkmcnt(0)
	v_add_f32_e32 v3, v4, v3
	ds_store_b32 v2, v3
.LBB29_32:
	s_or_b32 exec_lo, exec_lo, s0
	s_delay_alu instid0(SALU_CYCLE_1)
	s_mov_b32 s0, exec_lo
	s_waitcnt lgkmcnt(0)
	buffer_gl0_inv
                                        ; implicit-def: $vgpr3
	v_cmpx_gt_u32_e32 5, v0
; %bb.33:
	v_add_nc_u32_e32 v3, 5, v0
	s_or_b32 s1, s1, exec_lo
                                        ; implicit-def: $vgpr8
; %bb.34:
	s_or_b32 exec_lo, exec_lo, s0
	v_mov_b32_e32 v4, v2
.LBB29_35:
	s_and_saveexec_b32 s0, s1
	s_cbranch_execz .LBB29_37
; %bb.36:
	v_lshlrev_b32_e32 v2, 2, v3
	ds_load_b32 v3, v4
	ds_load_b32 v2, v2
	s_waitcnt lgkmcnt(0)
	v_add_f32_e32 v8, v3, v2
.LBB29_37:
	s_or_b32 exec_lo, exec_lo, s0
	s_delay_alu instid0(SALU_CYCLE_1)
	s_mov_b32 s0, exec_lo
	v_cmpx_gt_u32_e32 5, v0
	s_cbranch_execz .LBB29_41
; %bb.38:
	v_cmp_eq_f32_e64 s2, s8, 0
	v_lshlrev_b64 v[0:1], 2, v[0:1]
	v_mul_f32_e32 v2, s12, v8
	s_mov_b32 s1, 0
	s_mul_i32 s0, s11, 20
	s_and_b32 vcc_lo, exec_lo, s2
	s_mul_hi_u32 s2, s10, 20
	s_mul_i32 s3, s10, 20
	s_cbranch_vccz .LBB29_42
; %bb.39:
	s_add_i32 s6, s2, s0
	s_add_u32 s7, s4, s3
	s_addc_u32 s6, s5, s6
	v_add_co_u32 v3, vcc_lo, s7, v0
	v_add_co_ci_u32_e32 v4, vcc_lo, s6, v1, vcc_lo
	global_store_b32 v[3:4], v2, off
	s_and_not1_b32 vcc_lo, exec_lo, s1
	s_cbranch_vccnz .LBB29_41
.LBB29_40:
	s_add_i32 s2, s2, s0
	s_add_u32 s0, s4, s3
	s_addc_u32 s1, s5, s2
	v_add_co_u32 v0, vcc_lo, s0, v0
	v_add_co_ci_u32_e32 v1, vcc_lo, s1, v1, vcc_lo
	global_load_b32 v3, v[0:1], off
	s_waitcnt vmcnt(0)
	v_fmac_f32_e32 v2, s8, v3
	global_store_b32 v[0:1], v2, off
.LBB29_41:
	s_nop 0
	s_sendmsg sendmsg(MSG_DEALLOC_VGPRS)
	s_endpgm
.LBB29_42:
	s_branch .LBB29_40
	.section	.rodata,"a",@progbits
	.p2align	6, 0x0
	.amdhsa_kernel _ZN9rocsparseL18bsrxmvn_5x5_kernelILj50Efll18rocsparse_bfloat16S1_fEEvT2_20rocsparse_direction_NS_24const_host_device_scalarIT0_EES2_PKS2_PKT1_SB_S8_PKT3_PKT4_S6_PT5_21rocsparse_index_base_b
		.amdhsa_group_segment_fixed_size 200
		.amdhsa_private_segment_fixed_size 0
		.amdhsa_kernarg_size 104
		.amdhsa_user_sgpr_count 15
		.amdhsa_user_sgpr_dispatch_ptr 0
		.amdhsa_user_sgpr_queue_ptr 0
		.amdhsa_user_sgpr_kernarg_segment_ptr 1
		.amdhsa_user_sgpr_dispatch_id 0
		.amdhsa_user_sgpr_private_segment_size 0
		.amdhsa_wavefront_size32 1
		.amdhsa_uses_dynamic_stack 0
		.amdhsa_enable_private_segment 0
		.amdhsa_system_sgpr_workgroup_id_x 1
		.amdhsa_system_sgpr_workgroup_id_y 0
		.amdhsa_system_sgpr_workgroup_id_z 0
		.amdhsa_system_sgpr_workgroup_info 0
		.amdhsa_system_vgpr_workitem_id 0
		.amdhsa_next_free_vgpr 16
		.amdhsa_next_free_sgpr 24
		.amdhsa_reserve_vcc 1
		.amdhsa_float_round_mode_32 0
		.amdhsa_float_round_mode_16_64 0
		.amdhsa_float_denorm_mode_32 3
		.amdhsa_float_denorm_mode_16_64 3
		.amdhsa_dx10_clamp 1
		.amdhsa_ieee_mode 1
		.amdhsa_fp16_overflow 0
		.amdhsa_workgroup_processor_mode 1
		.amdhsa_memory_ordered 1
		.amdhsa_forward_progress 0
		.amdhsa_shared_vgpr_count 0
		.amdhsa_exception_fp_ieee_invalid_op 0
		.amdhsa_exception_fp_denorm_src 0
		.amdhsa_exception_fp_ieee_div_zero 0
		.amdhsa_exception_fp_ieee_overflow 0
		.amdhsa_exception_fp_ieee_underflow 0
		.amdhsa_exception_fp_ieee_inexact 0
		.amdhsa_exception_int_div_zero 0
	.end_amdhsa_kernel
	.section	.text._ZN9rocsparseL18bsrxmvn_5x5_kernelILj50Efll18rocsparse_bfloat16S1_fEEvT2_20rocsparse_direction_NS_24const_host_device_scalarIT0_EES2_PKS2_PKT1_SB_S8_PKT3_PKT4_S6_PT5_21rocsparse_index_base_b,"axG",@progbits,_ZN9rocsparseL18bsrxmvn_5x5_kernelILj50Efll18rocsparse_bfloat16S1_fEEvT2_20rocsparse_direction_NS_24const_host_device_scalarIT0_EES2_PKS2_PKT1_SB_S8_PKT3_PKT4_S6_PT5_21rocsparse_index_base_b,comdat
.Lfunc_end29:
	.size	_ZN9rocsparseL18bsrxmvn_5x5_kernelILj50Efll18rocsparse_bfloat16S1_fEEvT2_20rocsparse_direction_NS_24const_host_device_scalarIT0_EES2_PKS2_PKT1_SB_S8_PKT3_PKT4_S6_PT5_21rocsparse_index_base_b, .Lfunc_end29-_ZN9rocsparseL18bsrxmvn_5x5_kernelILj50Efll18rocsparse_bfloat16S1_fEEvT2_20rocsparse_direction_NS_24const_host_device_scalarIT0_EES2_PKS2_PKT1_SB_S8_PKT3_PKT4_S6_PT5_21rocsparse_index_base_b
                                        ; -- End function
	.section	.AMDGPU.csdata,"",@progbits
; Kernel info:
; codeLenInByte = 1528
; NumSgprs: 26
; NumVgprs: 16
; ScratchSize: 0
; MemoryBound: 0
; FloatMode: 240
; IeeeMode: 1
; LDSByteSize: 200 bytes/workgroup (compile time only)
; SGPRBlocks: 3
; VGPRBlocks: 1
; NumSGPRsForWavesPerEU: 26
; NumVGPRsForWavesPerEU: 16
; Occupancy: 16
; WaveLimiterHint : 1
; COMPUTE_PGM_RSRC2:SCRATCH_EN: 0
; COMPUTE_PGM_RSRC2:USER_SGPR: 15
; COMPUTE_PGM_RSRC2:TRAP_HANDLER: 0
; COMPUTE_PGM_RSRC2:TGID_X_EN: 1
; COMPUTE_PGM_RSRC2:TGID_Y_EN: 0
; COMPUTE_PGM_RSRC2:TGID_Z_EN: 0
; COMPUTE_PGM_RSRC2:TIDIG_COMP_CNT: 0
	.section	.text._ZN9rocsparseL18bsrxmvn_5x5_kernelILj50E21rocsparse_complex_numIfEiifS2_S2_EEvT2_20rocsparse_direction_NS_24const_host_device_scalarIT0_EES3_PKS3_PKT1_SC_S9_PKT3_PKT4_S7_PT5_21rocsparse_index_base_b,"axG",@progbits,_ZN9rocsparseL18bsrxmvn_5x5_kernelILj50E21rocsparse_complex_numIfEiifS2_S2_EEvT2_20rocsparse_direction_NS_24const_host_device_scalarIT0_EES3_PKS3_PKT1_SC_S9_PKT3_PKT4_S7_PT5_21rocsparse_index_base_b,comdat
	.globl	_ZN9rocsparseL18bsrxmvn_5x5_kernelILj50E21rocsparse_complex_numIfEiifS2_S2_EEvT2_20rocsparse_direction_NS_24const_host_device_scalarIT0_EES3_PKS3_PKT1_SC_S9_PKT3_PKT4_S7_PT5_21rocsparse_index_base_b ; -- Begin function _ZN9rocsparseL18bsrxmvn_5x5_kernelILj50E21rocsparse_complex_numIfEiifS2_S2_EEvT2_20rocsparse_direction_NS_24const_host_device_scalarIT0_EES3_PKS3_PKT1_SC_S9_PKT3_PKT4_S7_PT5_21rocsparse_index_base_b
	.p2align	8
	.type	_ZN9rocsparseL18bsrxmvn_5x5_kernelILj50E21rocsparse_complex_numIfEiifS2_S2_EEvT2_20rocsparse_direction_NS_24const_host_device_scalarIT0_EES3_PKS3_PKT1_SC_S9_PKT3_PKT4_S7_PT5_21rocsparse_index_base_b,@function
_ZN9rocsparseL18bsrxmvn_5x5_kernelILj50E21rocsparse_complex_numIfEiifS2_S2_EEvT2_20rocsparse_direction_NS_24const_host_device_scalarIT0_EES3_PKS3_PKT1_SC_S9_PKT3_PKT4_S7_PT5_21rocsparse_index_base_b: ; @_ZN9rocsparseL18bsrxmvn_5x5_kernelILj50E21rocsparse_complex_numIfEiifS2_S2_EEvT2_20rocsparse_direction_NS_24const_host_device_scalarIT0_EES3_PKS3_PKT1_SC_S9_PKT3_PKT4_S7_PT5_21rocsparse_index_base_b
; %bb.0:
	s_clause 0x2
	s_load_b64 s[10:11], s[0:1], 0x58
	s_load_b64 s[4:5], s[0:1], 0x8
	;; [unrolled: 1-line block ×3, first 2 shown]
	s_mov_b32 s8, s15
	s_waitcnt lgkmcnt(0)
	s_bitcmp1_b32 s11, 0
	v_mov_b32_e32 v10, s4
	s_cselect_b32 s6, -1, 0
	s_delay_alu instid0(SALU_CYCLE_1)
	s_and_b32 vcc_lo, exec_lo, s6
	s_xor_b32 s6, s6, -1
	s_cbranch_vccz .LBB30_15
; %bb.1:
	v_cndmask_b32_e64 v1, 0, 1, s6
	v_mov_b32_e32 v11, s5
	s_and_not1_b32 vcc_lo, exec_lo, s6
	s_cbranch_vccz .LBB30_16
.LBB30_2:
	s_delay_alu instid0(VALU_DEP_2)
	v_cmp_ne_u32_e32 vcc_lo, 1, v1
	v_mov_b32_e32 v8, s2
	s_cbranch_vccz .LBB30_17
.LBB30_3:
	v_cmp_ne_u32_e32 vcc_lo, 1, v1
	v_mov_b32_e32 v9, s3
	s_cbranch_vccnz .LBB30_5
.LBB30_4:
	v_dual_mov_b32 v1, s2 :: v_dual_mov_b32 v2, s3
	flat_load_b32 v9, v[1:2] offset:4
.LBB30_5:
	s_waitcnt vmcnt(0) lgkmcnt(0)
	v_cmp_eq_f32_e32 vcc_lo, 0, v10
	v_cmp_eq_f32_e64 s2, 0, v11
	s_delay_alu instid0(VALU_DEP_1)
	s_and_b32 s4, vcc_lo, s2
	s_mov_b32 s2, -1
	s_and_saveexec_b32 s3, s4
; %bb.6:
	v_cmp_neq_f32_e32 vcc_lo, 1.0, v8
	v_cmp_neq_f32_e64 s2, 0, v9
	s_delay_alu instid0(VALU_DEP_1) | instskip(NEXT) | instid1(SALU_CYCLE_1)
	s_or_b32 s2, vcc_lo, s2
	s_or_not1_b32 s2, s2, exec_lo
; %bb.7:
	s_or_b32 exec_lo, exec_lo, s3
	s_and_saveexec_b32 s3, s2
	s_cbranch_execz .LBB30_40
; %bb.8:
	s_clause 0x1
	s_load_b128 s[4:7], s[0:1], 0x18
	s_load_b64 s[2:3], s[0:1], 0x28
	s_waitcnt lgkmcnt(0)
	s_cmp_eq_u64 s[4:5], 0
	s_cbranch_scc1 .LBB30_10
; %bb.9:
	s_ashr_i32 s9, s8, 31
	s_delay_alu instid0(SALU_CYCLE_1) | instskip(NEXT) | instid1(SALU_CYCLE_1)
	s_lshl_b64 s[8:9], s[8:9], 2
	s_add_u32 s4, s4, s8
	s_addc_u32 s5, s5, s9
	s_load_b32 s4, s[4:5], 0x0
	s_waitcnt lgkmcnt(0)
	s_sub_i32 s8, s4, s10
.LBB30_10:
	s_load_b32 s4, s[0:1], 0x4
	v_mul_u32_u24_e32 v1, 0x3334, v0
	v_mov_b32_e32 v2, 0
	s_delay_alu instid0(VALU_DEP_2) | instskip(NEXT) | instid1(VALU_DEP_1)
	v_lshrrev_b32_e32 v3, 16, v1
	v_mul_lo_u16 v1, v3, 5
	s_delay_alu instid0(VALU_DEP_1)
	v_sub_nc_u16 v12, v0, v1
	v_mov_b32_e32 v1, 0
	s_waitcnt lgkmcnt(0)
	s_cmp_eq_u32 s4, 1
	s_cselect_b32 vcc_lo, -1, 0
	s_cmp_lg_u32 s4, 1
	s_cselect_b32 s11, -1, 0
	s_ashr_i32 s9, s8, 31
	s_delay_alu instid0(SALU_CYCLE_1) | instskip(NEXT) | instid1(SALU_CYCLE_1)
	s_lshl_b64 s[4:5], s[8:9], 2
	s_add_u32 s6, s6, s4
	s_addc_u32 s7, s7, s5
	s_add_u32 s9, s6, 4
	s_addc_u32 s12, s7, 0
	;; [unrolled: 2-line block ×3, first 2 shown]
	s_cmp_eq_u64 s[2:3], 0
	s_cselect_b32 s3, s12, s5
	s_cselect_b32 s2, s9, s4
	s_load_b32 s12, s[6:7], 0x0
	s_load_b32 s9, s[2:3], 0x0
	s_load_b64 s[2:3], s[0:1], 0x50
	s_waitcnt lgkmcnt(0)
	s_cmp_ge_i32 s12, s9
	s_cbranch_scc1 .LBB30_18
; %bb.11:
	v_mul_lo_u16 v1, v3, 52
	s_clause 0x1
	s_load_b128 s[4:7], s[0:1], 0x30
	s_load_b64 s[0:1], s[0:1], 0x40
	v_and_b32_e32 v5, 0xffff, v0
	s_mul_i32 s13, s10, 25
	s_sub_i32 s9, s9, s10
	v_lshrrev_b16 v1, 8, v1
	s_delay_alu instid0(VALU_DEP_1) | instskip(SKIP_2) | instid1(VALU_DEP_2)
	v_mul_lo_u16 v4, v1, 5
	v_mad_u64_u32 v[1:2], null, s12, 25, v[0:1]
	s_sub_i32 s12, s12, s10
	v_sub_nc_u16 v2, v3, v4
	v_mov_b32_e32 v4, 0
	s_delay_alu instid0(VALU_DEP_3) | instskip(NEXT) | instid1(VALU_DEP_3)
	v_subrev_nc_u32_e32 v3, s13, v1
	v_dual_mov_b32 v2, 0 :: v_dual_and_b32 v7, 0xff, v2
	v_and_b32_e32 v6, 0xffff, v12
	v_mul_u32_u24_e32 v5, 0xa3e, v5
	s_delay_alu instid0(VALU_DEP_3) | instskip(NEXT) | instid1(VALU_DEP_2)
	v_mov_b32_e32 v1, v2
	v_lshrrev_b32_e32 v13, 16, v5
	s_delay_alu instid0(VALU_DEP_4)
	v_cndmask_b32_e32 v5, v6, v7, vcc_lo
	s_set_inst_prefetch_distance 0x1
	s_branch .LBB30_13
	.p2align	6
.LBB30_12:                              ;   in Loop: Header=BB30_13 Depth=1
	s_or_b32 exec_lo, exec_lo, s13
	v_add_nc_u32_e32 v3, 50, v3
	s_add_i32 s12, s12, 2
	s_delay_alu instid0(SALU_CYCLE_1)
	s_cmp_ge_i32 s12, s9
	s_cbranch_scc1 .LBB30_18
.LBB30_13:                              ; =>This Inner Loop Header: Depth=1
	s_delay_alu instid0(VALU_DEP_2) | instskip(SKIP_1) | instid1(VALU_DEP_1)
	v_add_nc_u32_e32 v6, s12, v13
	s_mov_b32 s13, exec_lo
	v_cmpx_gt_i32_e64 s9, v6
	s_cbranch_execz .LBB30_12
; %bb.14:                               ;   in Loop: Header=BB30_13 Depth=1
	v_ashrrev_i32_e32 v7, 31, v6
	s_delay_alu instid0(VALU_DEP_1) | instskip(SKIP_1) | instid1(VALU_DEP_1)
	v_lshlrev_b64 v[6:7], 2, v[6:7]
	s_waitcnt lgkmcnt(0)
	v_add_co_u32 v6, vcc_lo, s4, v6
	s_delay_alu instid0(VALU_DEP_2) | instskip(SKIP_3) | instid1(VALU_DEP_1)
	v_add_co_ci_u32_e32 v7, vcc_lo, s5, v7, vcc_lo
	global_load_b32 v6, v[6:7], off
	s_waitcnt vmcnt(0)
	v_subrev_nc_u32_e32 v14, s10, v6
	v_mad_u64_u32 v[6:7], null, v14, 5, v[5:6]
	v_lshlrev_b64 v[14:15], 2, v[3:4]
	s_delay_alu instid0(VALU_DEP_1) | instskip(NEXT) | instid1(VALU_DEP_3)
	v_add_co_u32 v14, vcc_lo, s6, v14
	v_ashrrev_i32_e32 v7, 31, v6
	s_delay_alu instid0(VALU_DEP_3) | instskip(NEXT) | instid1(VALU_DEP_2)
	v_add_co_ci_u32_e32 v15, vcc_lo, s7, v15, vcc_lo
	v_lshlrev_b64 v[6:7], 3, v[6:7]
	s_delay_alu instid0(VALU_DEP_1) | instskip(NEXT) | instid1(VALU_DEP_2)
	v_add_co_u32 v6, vcc_lo, s0, v6
	v_add_co_ci_u32_e32 v7, vcc_lo, s1, v7, vcc_lo
	global_load_b32 v14, v[14:15], off
	global_load_b64 v[6:7], v[6:7], off
	s_waitcnt vmcnt(0)
	v_fmac_f32_e32 v1, v14, v6
	s_delay_alu instid0(VALU_DEP_1) | instskip(NEXT) | instid1(VALU_DEP_1)
	v_dual_fmac_f32 v2, 0, v6 :: v_dual_fmac_f32 v1, 0x80000000, v7
	v_fmac_f32_e32 v2, v14, v7
	s_branch .LBB30_12
.LBB30_15:
	v_dual_mov_b32 v1, s4 :: v_dual_mov_b32 v2, s5
	flat_load_b32 v10, v[1:2]
	v_cndmask_b32_e64 v1, 0, 1, s6
	v_mov_b32_e32 v11, s5
	s_and_not1_b32 vcc_lo, exec_lo, s6
	s_cbranch_vccnz .LBB30_2
.LBB30_16:
	v_dual_mov_b32 v2, s4 :: v_dual_mov_b32 v3, s5
	flat_load_b32 v11, v[2:3] offset:4
	v_cmp_ne_u32_e32 vcc_lo, 1, v1
	v_mov_b32_e32 v8, s2
	s_cbranch_vccnz .LBB30_3
.LBB30_17:
	v_dual_mov_b32 v2, s2 :: v_dual_mov_b32 v3, s3
	flat_load_b32 v8, v[2:3]
	v_cmp_ne_u32_e32 vcc_lo, 1, v1
	v_mov_b32_e32 v9, s3
	s_cbranch_vccz .LBB30_4
	s_branch .LBB30_5
.LBB30_18:
	s_set_inst_prefetch_distance 0x2
	v_lshlrev_b32_e32 v3, 3, v0
	s_and_b32 vcc_lo, exec_lo, s11
	ds_store_b64 v3, v[1:2]
	s_waitcnt lgkmcnt(0)
	buffer_gl0_inv
	s_cbranch_vccz .LBB30_28
; %bb.19:
	s_mov_b32 s0, exec_lo
	v_cmpx_gt_u32_e32 25, v0
	s_cbranch_execz .LBB30_21
; %bb.20:
	ds_load_2addr_b64 v[4:7], v3 offset1:25
	s_waitcnt lgkmcnt(0)
	v_dual_add_f32 v4, v6, v4 :: v_dual_add_f32 v5, v7, v5
	ds_store_b64 v3, v[4:5]
.LBB30_21:
	s_or_b32 exec_lo, exec_lo, s0
	s_delay_alu instid0(SALU_CYCLE_1)
	s_mov_b32 s0, exec_lo
	s_waitcnt lgkmcnt(0)
	buffer_gl0_inv
	v_cmpx_eq_u16_e32 0, v12
	s_cbranch_execz .LBB30_23
; %bb.22:
	ds_load_2addr_b64 v[4:7], v3 offset1:4
	s_waitcnt lgkmcnt(0)
	v_dual_add_f32 v4, v6, v4 :: v_dual_add_f32 v5, v7, v5
	ds_store_b64 v3, v[4:5]
.LBB30_23:
	s_or_b32 exec_lo, exec_lo, s0
	s_delay_alu instid0(SALU_CYCLE_1)
	s_mov_b32 s0, exec_lo
	s_waitcnt lgkmcnt(0)
	buffer_gl0_inv
	v_cmpx_gt_u16_e32 2, v12
	s_cbranch_execz .LBB30_25
; %bb.24:
	ds_load_2addr_b64 v[4:7], v3 offset1:2
	s_waitcnt lgkmcnt(0)
	v_dual_add_f32 v4, v6, v4 :: v_dual_add_f32 v5, v7, v5
	ds_store_b64 v3, v[4:5]
.LBB30_25:
	s_or_b32 exec_lo, exec_lo, s0
	s_mov_b32 s0, 0
	s_mov_b32 s1, 0
	s_mov_b32 s4, exec_lo
	s_waitcnt lgkmcnt(0)
	buffer_gl0_inv
                                        ; implicit-def: $vgpr5
                                        ; implicit-def: $vgpr4
	v_cmpx_gt_u32_e32 5, v0
	s_xor_b32 s4, exec_lo, s4
; %bb.26:
	v_lshl_add_u32 v5, v0, 5, v3
	v_mad_u32_u24 v4, v0, 5, 1
	s_mov_b32 s1, exec_lo
; %bb.27:
	s_or_b32 exec_lo, exec_lo, s4
	s_delay_alu instid0(SALU_CYCLE_1)
	s_and_b32 vcc_lo, exec_lo, s0
	s_cbranch_vccnz .LBB30_29
	s_branch .LBB30_38
.LBB30_28:
	s_mov_b32 s1, 0
                                        ; implicit-def: $vgpr5
                                        ; implicit-def: $vgpr4
	s_cbranch_execz .LBB30_38
.LBB30_29:
	v_cmp_gt_u32_e32 vcc_lo, 10, v0
	s_and_saveexec_b32 s0, vcc_lo
	s_cbranch_execz .LBB30_31
; %bb.30:
	ds_load_2addr_b64 v[4:7], v3 offset1:40
	s_waitcnt lgkmcnt(0)
	v_dual_add_f32 v4, v6, v4 :: v_dual_add_f32 v5, v7, v5
	ds_store_b64 v3, v[4:5]
.LBB30_31:
	s_or_b32 exec_lo, exec_lo, s0
	s_delay_alu instid0(SALU_CYCLE_1)
	s_mov_b32 s4, exec_lo
	s_waitcnt lgkmcnt(0)
	buffer_gl0_inv
	v_cmpx_gt_u32_e32 20, v0
	s_cbranch_execz .LBB30_33
; %bb.32:
	ds_load_2addr_b64 v[4:7], v3 offset1:20
	s_waitcnt lgkmcnt(0)
	v_dual_add_f32 v4, v6, v4 :: v_dual_add_f32 v5, v7, v5
	ds_store_b64 v3, v[4:5]
.LBB30_33:
	s_or_b32 exec_lo, exec_lo, s4
	s_waitcnt lgkmcnt(0)
	buffer_gl0_inv
	s_and_saveexec_b32 s0, vcc_lo
	s_cbranch_execz .LBB30_35
; %bb.34:
	ds_load_2addr_b64 v[4:7], v3 offset1:10
	s_waitcnt lgkmcnt(0)
	v_dual_add_f32 v4, v6, v4 :: v_dual_add_f32 v5, v7, v5
	ds_store_b64 v3, v[4:5]
.LBB30_35:
	s_or_b32 exec_lo, exec_lo, s0
	s_delay_alu instid0(SALU_CYCLE_1)
	s_mov_b32 s0, exec_lo
	s_waitcnt lgkmcnt(0)
	buffer_gl0_inv
                                        ; implicit-def: $vgpr4
	v_cmpx_gt_u32_e32 5, v0
; %bb.36:
	v_add_nc_u32_e32 v4, 5, v0
	s_or_b32 s1, s1, exec_lo
                                        ; implicit-def: $vgpr2
; %bb.37:
	s_or_b32 exec_lo, exec_lo, s0
	v_mov_b32_e32 v5, v3
.LBB30_38:
	s_and_saveexec_b32 s0, s1
	s_cbranch_execnz .LBB30_41
; %bb.39:
	s_or_b32 exec_lo, exec_lo, s0
	v_cmp_gt_u32_e32 vcc_lo, 5, v0
	s_and_b32 exec_lo, exec_lo, vcc_lo
	s_cbranch_execnz .LBB30_42
.LBB30_40:
	s_nop 0
	s_sendmsg sendmsg(MSG_DEALLOC_VGPRS)
	s_endpgm
.LBB30_41:
	v_lshlrev_b32_e32 v3, 3, v4
	ds_load_2addr_b32 v[1:2], v5 offset1:1
	ds_load_b64 v[3:4], v3
	s_waitcnt lgkmcnt(0)
	v_dual_add_f32 v2, v4, v2 :: v_dual_add_f32 v1, v3, v1
	s_or_b32 exec_lo, exec_lo, s0
	v_cmp_gt_u32_e32 vcc_lo, 5, v0
	s_and_b32 exec_lo, exec_lo, vcc_lo
	s_cbranch_execz .LBB30_40
.LBB30_42:
	v_mul_f32_e64 v3, v2, -v11
	v_mul_f32_e32 v4, v2, v10
	v_cmp_eq_f32_e32 vcc_lo, 0, v8
	v_cmp_eq_f32_e64 s0, 0, v9
	s_delay_alu instid0(VALU_DEP_4) | instskip(NEXT) | instid1(VALU_DEP_4)
	v_fmac_f32_e32 v3, v10, v1
	v_fmac_f32_e32 v4, v11, v1
	s_delay_alu instid0(VALU_DEP_3) | instskip(NEXT) | instid1(SALU_CYCLE_1)
	s_and_b32 s0, vcc_lo, s0
	s_and_saveexec_b32 s1, s0
	s_delay_alu instid0(SALU_CYCLE_1)
	s_xor_b32 s0, exec_lo, s1
	s_cbranch_execz .LBB30_44
; %bb.43:
	v_mad_u64_u32 v[1:2], null, s8, 5, v[0:1]
	v_mov_b32_e32 v2, 0
                                        ; implicit-def: $vgpr8
                                        ; implicit-def: $vgpr9
	s_delay_alu instid0(VALU_DEP_1) | instskip(NEXT) | instid1(VALU_DEP_1)
	v_lshlrev_b64 v[0:1], 3, v[1:2]
	v_add_co_u32 v0, vcc_lo, s2, v0
	s_delay_alu instid0(VALU_DEP_2)
	v_add_co_ci_u32_e32 v1, vcc_lo, s3, v1, vcc_lo
	global_store_b64 v[0:1], v[3:4], off
                                        ; implicit-def: $vgpr0
                                        ; implicit-def: $vgpr3
.LBB30_44:
	s_and_not1_saveexec_b32 s0, s0
	s_cbranch_execz .LBB30_40
; %bb.45:
	v_mad_u64_u32 v[1:2], null, s8, 5, v[0:1]
	v_mov_b32_e32 v2, 0
	s_delay_alu instid0(VALU_DEP_1) | instskip(NEXT) | instid1(VALU_DEP_1)
	v_lshlrev_b64 v[0:1], 3, v[1:2]
	v_add_co_u32 v0, vcc_lo, s2, v0
	s_delay_alu instid0(VALU_DEP_2) | instskip(SKIP_4) | instid1(VALU_DEP_2)
	v_add_co_ci_u32_e32 v1, vcc_lo, s3, v1, vcc_lo
	global_load_b64 v[5:6], v[0:1], off
	s_waitcnt vmcnt(0)
	v_fmac_f32_e32 v3, v8, v5
	v_fmac_f32_e32 v4, v9, v5
	v_fma_f32 v3, -v9, v6, v3
	s_delay_alu instid0(VALU_DEP_2)
	v_fmac_f32_e32 v4, v8, v6
	global_store_b64 v[0:1], v[3:4], off
	s_nop 0
	s_sendmsg sendmsg(MSG_DEALLOC_VGPRS)
	s_endpgm
	.section	.rodata,"a",@progbits
	.p2align	6, 0x0
	.amdhsa_kernel _ZN9rocsparseL18bsrxmvn_5x5_kernelILj50E21rocsparse_complex_numIfEiifS2_S2_EEvT2_20rocsparse_direction_NS_24const_host_device_scalarIT0_EES3_PKS3_PKT1_SC_S9_PKT3_PKT4_S7_PT5_21rocsparse_index_base_b
		.amdhsa_group_segment_fixed_size 400
		.amdhsa_private_segment_fixed_size 0
		.amdhsa_kernarg_size 96
		.amdhsa_user_sgpr_count 15
		.amdhsa_user_sgpr_dispatch_ptr 0
		.amdhsa_user_sgpr_queue_ptr 0
		.amdhsa_user_sgpr_kernarg_segment_ptr 1
		.amdhsa_user_sgpr_dispatch_id 0
		.amdhsa_user_sgpr_private_segment_size 0
		.amdhsa_wavefront_size32 1
		.amdhsa_uses_dynamic_stack 0
		.amdhsa_enable_private_segment 0
		.amdhsa_system_sgpr_workgroup_id_x 1
		.amdhsa_system_sgpr_workgroup_id_y 0
		.amdhsa_system_sgpr_workgroup_id_z 0
		.amdhsa_system_sgpr_workgroup_info 0
		.amdhsa_system_vgpr_workitem_id 0
		.amdhsa_next_free_vgpr 16
		.amdhsa_next_free_sgpr 16
		.amdhsa_reserve_vcc 1
		.amdhsa_float_round_mode_32 0
		.amdhsa_float_round_mode_16_64 0
		.amdhsa_float_denorm_mode_32 3
		.amdhsa_float_denorm_mode_16_64 3
		.amdhsa_dx10_clamp 1
		.amdhsa_ieee_mode 1
		.amdhsa_fp16_overflow 0
		.amdhsa_workgroup_processor_mode 1
		.amdhsa_memory_ordered 1
		.amdhsa_forward_progress 0
		.amdhsa_shared_vgpr_count 0
		.amdhsa_exception_fp_ieee_invalid_op 0
		.amdhsa_exception_fp_denorm_src 0
		.amdhsa_exception_fp_ieee_div_zero 0
		.amdhsa_exception_fp_ieee_overflow 0
		.amdhsa_exception_fp_ieee_underflow 0
		.amdhsa_exception_fp_ieee_inexact 0
		.amdhsa_exception_int_div_zero 0
	.end_amdhsa_kernel
	.section	.text._ZN9rocsparseL18bsrxmvn_5x5_kernelILj50E21rocsparse_complex_numIfEiifS2_S2_EEvT2_20rocsparse_direction_NS_24const_host_device_scalarIT0_EES3_PKS3_PKT1_SC_S9_PKT3_PKT4_S7_PT5_21rocsparse_index_base_b,"axG",@progbits,_ZN9rocsparseL18bsrxmvn_5x5_kernelILj50E21rocsparse_complex_numIfEiifS2_S2_EEvT2_20rocsparse_direction_NS_24const_host_device_scalarIT0_EES3_PKS3_PKT1_SC_S9_PKT3_PKT4_S7_PT5_21rocsparse_index_base_b,comdat
.Lfunc_end30:
	.size	_ZN9rocsparseL18bsrxmvn_5x5_kernelILj50E21rocsparse_complex_numIfEiifS2_S2_EEvT2_20rocsparse_direction_NS_24const_host_device_scalarIT0_EES3_PKS3_PKT1_SC_S9_PKT3_PKT4_S7_PT5_21rocsparse_index_base_b, .Lfunc_end30-_ZN9rocsparseL18bsrxmvn_5x5_kernelILj50E21rocsparse_complex_numIfEiifS2_S2_EEvT2_20rocsparse_direction_NS_24const_host_device_scalarIT0_EES3_PKS3_PKT1_SC_S9_PKT3_PKT4_S7_PT5_21rocsparse_index_base_b
                                        ; -- End function
	.section	.AMDGPU.csdata,"",@progbits
; Kernel info:
; codeLenInByte = 1652
; NumSgprs: 18
; NumVgprs: 16
; ScratchSize: 0
; MemoryBound: 0
; FloatMode: 240
; IeeeMode: 1
; LDSByteSize: 400 bytes/workgroup (compile time only)
; SGPRBlocks: 2
; VGPRBlocks: 1
; NumSGPRsForWavesPerEU: 18
; NumVGPRsForWavesPerEU: 16
; Occupancy: 16
; WaveLimiterHint : 1
; COMPUTE_PGM_RSRC2:SCRATCH_EN: 0
; COMPUTE_PGM_RSRC2:USER_SGPR: 15
; COMPUTE_PGM_RSRC2:TRAP_HANDLER: 0
; COMPUTE_PGM_RSRC2:TGID_X_EN: 1
; COMPUTE_PGM_RSRC2:TGID_Y_EN: 0
; COMPUTE_PGM_RSRC2:TGID_Z_EN: 0
; COMPUTE_PGM_RSRC2:TIDIG_COMP_CNT: 0
	.section	.text._ZN9rocsparseL18bsrxmvn_5x5_kernelILj50E21rocsparse_complex_numIfElifS2_S2_EEvT2_20rocsparse_direction_NS_24const_host_device_scalarIT0_EES3_PKS3_PKT1_SC_S9_PKT3_PKT4_S7_PT5_21rocsparse_index_base_b,"axG",@progbits,_ZN9rocsparseL18bsrxmvn_5x5_kernelILj50E21rocsparse_complex_numIfElifS2_S2_EEvT2_20rocsparse_direction_NS_24const_host_device_scalarIT0_EES3_PKS3_PKT1_SC_S9_PKT3_PKT4_S7_PT5_21rocsparse_index_base_b,comdat
	.globl	_ZN9rocsparseL18bsrxmvn_5x5_kernelILj50E21rocsparse_complex_numIfElifS2_S2_EEvT2_20rocsparse_direction_NS_24const_host_device_scalarIT0_EES3_PKS3_PKT1_SC_S9_PKT3_PKT4_S7_PT5_21rocsparse_index_base_b ; -- Begin function _ZN9rocsparseL18bsrxmvn_5x5_kernelILj50E21rocsparse_complex_numIfElifS2_S2_EEvT2_20rocsparse_direction_NS_24const_host_device_scalarIT0_EES3_PKS3_PKT1_SC_S9_PKT3_PKT4_S7_PT5_21rocsparse_index_base_b
	.p2align	8
	.type	_ZN9rocsparseL18bsrxmvn_5x5_kernelILj50E21rocsparse_complex_numIfElifS2_S2_EEvT2_20rocsparse_direction_NS_24const_host_device_scalarIT0_EES3_PKS3_PKT1_SC_S9_PKT3_PKT4_S7_PT5_21rocsparse_index_base_b,@function
_ZN9rocsparseL18bsrxmvn_5x5_kernelILj50E21rocsparse_complex_numIfElifS2_S2_EEvT2_20rocsparse_direction_NS_24const_host_device_scalarIT0_EES3_PKS3_PKT1_SC_S9_PKT3_PKT4_S7_PT5_21rocsparse_index_base_b: ; @_ZN9rocsparseL18bsrxmvn_5x5_kernelILj50E21rocsparse_complex_numIfElifS2_S2_EEvT2_20rocsparse_direction_NS_24const_host_device_scalarIT0_EES3_PKS3_PKT1_SC_S9_PKT3_PKT4_S7_PT5_21rocsparse_index_base_b
; %bb.0:
	s_clause 0x2
	s_load_b64 s[10:11], s[0:1], 0x58
	s_load_b64 s[4:5], s[0:1], 0x8
	;; [unrolled: 1-line block ×3, first 2 shown]
	s_mov_b32 s8, s15
	s_waitcnt lgkmcnt(0)
	s_bitcmp1_b32 s11, 0
	v_mov_b32_e32 v10, s4
	s_cselect_b32 s6, -1, 0
	s_delay_alu instid0(SALU_CYCLE_1)
	s_and_b32 vcc_lo, exec_lo, s6
	s_xor_b32 s6, s6, -1
	s_cbranch_vccz .LBB31_15
; %bb.1:
	v_cndmask_b32_e64 v1, 0, 1, s6
	v_mov_b32_e32 v11, s5
	s_and_not1_b32 vcc_lo, exec_lo, s6
	s_cbranch_vccz .LBB31_16
.LBB31_2:
	s_delay_alu instid0(VALU_DEP_2)
	v_cmp_ne_u32_e32 vcc_lo, 1, v1
	v_mov_b32_e32 v8, s2
	s_cbranch_vccz .LBB31_17
.LBB31_3:
	v_cmp_ne_u32_e32 vcc_lo, 1, v1
	v_mov_b32_e32 v9, s3
	s_cbranch_vccnz .LBB31_5
.LBB31_4:
	v_dual_mov_b32 v1, s2 :: v_dual_mov_b32 v2, s3
	flat_load_b32 v9, v[1:2] offset:4
.LBB31_5:
	s_waitcnt vmcnt(0) lgkmcnt(0)
	v_cmp_eq_f32_e32 vcc_lo, 0, v10
	v_cmp_eq_f32_e64 s2, 0, v11
	s_delay_alu instid0(VALU_DEP_1)
	s_and_b32 s4, vcc_lo, s2
	s_mov_b32 s2, -1
	s_and_saveexec_b32 s3, s4
; %bb.6:
	v_cmp_neq_f32_e32 vcc_lo, 1.0, v8
	v_cmp_neq_f32_e64 s2, 0, v9
	s_delay_alu instid0(VALU_DEP_1) | instskip(NEXT) | instid1(SALU_CYCLE_1)
	s_or_b32 s2, vcc_lo, s2
	s_or_not1_b32 s2, s2, exec_lo
; %bb.7:
	s_or_b32 exec_lo, exec_lo, s3
	s_and_saveexec_b32 s3, s2
	s_cbranch_execz .LBB31_40
; %bb.8:
	s_clause 0x1
	s_load_b128 s[4:7], s[0:1], 0x18
	s_load_b64 s[12:13], s[0:1], 0x28
	s_waitcnt lgkmcnt(0)
	s_cmp_eq_u64 s[4:5], 0
	s_cbranch_scc1 .LBB31_10
; %bb.9:
	s_ashr_i32 s9, s8, 31
	s_delay_alu instid0(SALU_CYCLE_1) | instskip(NEXT) | instid1(SALU_CYCLE_1)
	s_lshl_b64 s[2:3], s[8:9], 2
	s_add_u32 s2, s4, s2
	s_addc_u32 s3, s5, s3
	s_load_b32 s2, s[2:3], 0x0
	s_waitcnt lgkmcnt(0)
	s_sub_i32 s8, s2, s10
.LBB31_10:
	s_load_b32 s3, s[0:1], 0x4
	v_mul_u32_u24_e32 v1, 0x3334, v0
	v_mov_b32_e32 v2, 0
	s_delay_alu instid0(VALU_DEP_2) | instskip(NEXT) | instid1(VALU_DEP_1)
	v_lshrrev_b32_e32 v3, 16, v1
	v_mul_lo_u16 v1, v3, 5
	s_delay_alu instid0(VALU_DEP_1)
	v_sub_nc_u16 v12, v0, v1
	v_mov_b32_e32 v1, 0
	s_waitcnt lgkmcnt(0)
	s_cmp_eq_u32 s3, 1
	s_cselect_b32 s2, -1, 0
	s_cmp_lg_u32 s3, 1
	s_cselect_b32 s11, -1, 0
	s_ashr_i32 s9, s8, 31
	s_delay_alu instid0(SALU_CYCLE_1) | instskip(NEXT) | instid1(SALU_CYCLE_1)
	s_lshl_b64 s[4:5], s[8:9], 3
	s_add_u32 s6, s6, s4
	s_addc_u32 s7, s7, s5
	s_add_u32 s3, s6, 8
	s_addc_u32 s9, s7, 0
	;; [unrolled: 2-line block ×3, first 2 shown]
	s_cmp_eq_u64 s[12:13], 0
	s_cselect_b32 s5, s9, s5
	s_cselect_b32 s4, s3, s4
	s_load_b64 s[12:13], s[6:7], 0x0
	s_load_b64 s[6:7], s[4:5], 0x0
	;; [unrolled: 1-line block ×3, first 2 shown]
	s_waitcnt lgkmcnt(0)
	v_cmp_ge_i64_e64 s3, s[12:13], s[6:7]
	s_delay_alu instid0(VALU_DEP_1)
	s_and_b32 vcc_lo, exec_lo, s3
	s_cbranch_vccnz .LBB31_18
; %bb.11:
	v_mul_lo_u16 v4, v3, 52
	v_dual_mov_b32 v2, 0 :: v_dual_lshlrev_b32 v1, 2, v0
	s_clause 0x1
	s_load_b128 s[16:19], s[0:1], 0x30
	s_load_b64 s[0:1], s[0:1], 0x40
	s_mul_i32 s9, s10, 0x64
	v_lshrrev_b16 v6, 8, v4
	s_mul_hi_u32 s3, s10, 0x64
	v_mad_u64_u32 v[4:5], null, 0x64, s12, v[1:2]
	v_and_b32_e32 v1, 0xffff, v0
	s_delay_alu instid0(VALU_DEP_3)
	v_mul_lo_u16 v6, v6, 5
	v_and_b32_e32 v14, 0xffff, v12
	s_sub_u32 s6, s6, s10
	s_subb_u32 s7, s7, 0
	v_mul_u32_u24_e32 v7, 0xa3e, v1
	v_mov_b32_e32 v1, v5
	v_sub_nc_u16 v3, v3, v6
	s_delay_alu instid0(VALU_DEP_3) | instskip(NEXT) | instid1(VALU_DEP_3)
	v_lshrrev_b32_e32 v13, 16, v7
	v_mad_u64_u32 v[5:6], null, 0x64, s13, v[1:2]
	s_delay_alu instid0(VALU_DEP_3) | instskip(NEXT) | instid1(VALU_DEP_3)
	v_and_b32_e32 v1, 0xff, v3
	v_add_co_u32 v6, s14, s12, v13
	s_delay_alu instid0(VALU_DEP_1) | instskip(NEXT) | instid1(VALU_DEP_3)
	v_add_co_ci_u32_e64 v7, null, s13, 0, s14
	v_cndmask_b32_e64 v3, v14, v1, s2
	v_mov_b32_e32 v1, v5
	s_delay_alu instid0(VALU_DEP_4) | instskip(NEXT) | instid1(VALU_DEP_4)
	v_sub_co_u32 v5, vcc_lo, v6, s10
	v_subrev_co_ci_u32_e32 v6, vcc_lo, 0, v7, vcc_lo
	v_sub_co_u32 v4, vcc_lo, v4, s9
	s_delay_alu instid0(VALU_DEP_4) | instskip(NEXT) | instid1(VALU_DEP_3)
	v_subrev_co_ci_u32_e32 v1, vcc_lo, s3, v1, vcc_lo
	v_lshlrev_b64 v[6:7], 2, v[5:6]
	s_waitcnt lgkmcnt(0)
	s_delay_alu instid0(VALU_DEP_3) | instskip(NEXT) | instid1(VALU_DEP_3)
	v_add_co_u32 v4, vcc_lo, s18, v4
	v_add_co_ci_u32_e32 v5, vcc_lo, s19, v1, vcc_lo
	v_mov_b32_e32 v1, v2
	s_delay_alu instid0(VALU_DEP_4)
	v_add_co_u32 v6, vcc_lo, s16, v6
	v_add_co_ci_u32_e32 v7, vcc_lo, s17, v7, vcc_lo
	s_sub_u32 s2, s12, s10
	s_subb_u32 s3, s13, 0
	s_set_inst_prefetch_distance 0x1
	s_branch .LBB31_13
	.p2align	6
.LBB31_12:                              ;   in Loop: Header=BB31_13 Depth=1
	s_or_b32 exec_lo, exec_lo, s9
	s_add_u32 s2, s2, 2
	s_addc_u32 s3, s3, 0
	v_add_co_u32 v4, vcc_lo, 0xc8, v4
	v_cmp_ge_i64_e64 s9, s[2:3], s[6:7]
	v_add_co_ci_u32_e32 v5, vcc_lo, 0, v5, vcc_lo
	v_add_co_u32 v6, vcc_lo, v6, 8
	v_add_co_ci_u32_e32 v7, vcc_lo, 0, v7, vcc_lo
	s_delay_alu instid0(VALU_DEP_4)
	s_and_b32 vcc_lo, exec_lo, s9
	s_cbranch_vccnz .LBB31_18
.LBB31_13:                              ; =>This Inner Loop Header: Depth=1
	v_add_co_u32 v14, s9, v13, s2
	s_delay_alu instid0(VALU_DEP_1) | instskip(SKIP_1) | instid1(VALU_DEP_1)
	v_add_co_ci_u32_e64 v15, null, 0, s3, s9
	s_mov_b32 s9, exec_lo
	v_cmpx_gt_i64_e64 s[6:7], v[14:15]
	s_cbranch_execz .LBB31_12
; %bb.14:                               ;   in Loop: Header=BB31_13 Depth=1
	global_load_b32 v14, v[6:7], off
	s_waitcnt vmcnt(0)
	v_subrev_nc_u32_e32 v16, s10, v14
	s_delay_alu instid0(VALU_DEP_1) | instskip(NEXT) | instid1(VALU_DEP_1)
	v_mad_u64_u32 v[14:15], null, v16, 5, v[3:4]
	v_ashrrev_i32_e32 v15, 31, v14
	s_delay_alu instid0(VALU_DEP_1) | instskip(NEXT) | instid1(VALU_DEP_1)
	v_lshlrev_b64 v[14:15], 3, v[14:15]
	v_add_co_u32 v14, vcc_lo, s0, v14
	s_delay_alu instid0(VALU_DEP_2) | instskip(SKIP_4) | instid1(VALU_DEP_1)
	v_add_co_ci_u32_e32 v15, vcc_lo, s1, v15, vcc_lo
	global_load_b32 v16, v[4:5], off
	global_load_b64 v[14:15], v[14:15], off
	s_waitcnt vmcnt(0)
	v_fmac_f32_e32 v1, v16, v14
	v_dual_fmac_f32 v2, 0, v14 :: v_dual_fmac_f32 v1, 0x80000000, v15
	s_delay_alu instid0(VALU_DEP_1)
	v_fmac_f32_e32 v2, v16, v15
	s_branch .LBB31_12
.LBB31_15:
	v_dual_mov_b32 v1, s4 :: v_dual_mov_b32 v2, s5
	flat_load_b32 v10, v[1:2]
	v_cndmask_b32_e64 v1, 0, 1, s6
	v_mov_b32_e32 v11, s5
	s_and_not1_b32 vcc_lo, exec_lo, s6
	s_cbranch_vccnz .LBB31_2
.LBB31_16:
	v_dual_mov_b32 v2, s4 :: v_dual_mov_b32 v3, s5
	flat_load_b32 v11, v[2:3] offset:4
	v_cmp_ne_u32_e32 vcc_lo, 1, v1
	v_mov_b32_e32 v8, s2
	s_cbranch_vccnz .LBB31_3
.LBB31_17:
	v_dual_mov_b32 v2, s2 :: v_dual_mov_b32 v3, s3
	flat_load_b32 v8, v[2:3]
	v_cmp_ne_u32_e32 vcc_lo, 1, v1
	v_mov_b32_e32 v9, s3
	s_cbranch_vccz .LBB31_4
	s_branch .LBB31_5
.LBB31_18:
	s_set_inst_prefetch_distance 0x2
	v_lshlrev_b32_e32 v3, 3, v0
	s_and_b32 vcc_lo, exec_lo, s11
	ds_store_b64 v3, v[1:2]
	s_waitcnt lgkmcnt(0)
	buffer_gl0_inv
	s_cbranch_vccz .LBB31_28
; %bb.19:
	s_mov_b32 s0, exec_lo
	v_cmpx_gt_u32_e32 25, v0
	s_cbranch_execz .LBB31_21
; %bb.20:
	ds_load_2addr_b64 v[4:7], v3 offset1:25
	s_waitcnt lgkmcnt(0)
	v_dual_add_f32 v4, v6, v4 :: v_dual_add_f32 v5, v7, v5
	ds_store_b64 v3, v[4:5]
.LBB31_21:
	s_or_b32 exec_lo, exec_lo, s0
	s_delay_alu instid0(SALU_CYCLE_1)
	s_mov_b32 s0, exec_lo
	s_waitcnt lgkmcnt(0)
	buffer_gl0_inv
	v_cmpx_eq_u16_e32 0, v12
	s_cbranch_execz .LBB31_23
; %bb.22:
	ds_load_2addr_b64 v[4:7], v3 offset1:4
	s_waitcnt lgkmcnt(0)
	v_dual_add_f32 v4, v6, v4 :: v_dual_add_f32 v5, v7, v5
	ds_store_b64 v3, v[4:5]
.LBB31_23:
	s_or_b32 exec_lo, exec_lo, s0
	s_delay_alu instid0(SALU_CYCLE_1)
	s_mov_b32 s0, exec_lo
	s_waitcnt lgkmcnt(0)
	buffer_gl0_inv
	v_cmpx_gt_u16_e32 2, v12
	s_cbranch_execz .LBB31_25
; %bb.24:
	ds_load_2addr_b64 v[4:7], v3 offset1:2
	s_waitcnt lgkmcnt(0)
	v_dual_add_f32 v4, v6, v4 :: v_dual_add_f32 v5, v7, v5
	ds_store_b64 v3, v[4:5]
.LBB31_25:
	s_or_b32 exec_lo, exec_lo, s0
	s_mov_b32 s0, 0
	s_mov_b32 s1, 0
	s_mov_b32 s2, exec_lo
	s_waitcnt lgkmcnt(0)
	buffer_gl0_inv
                                        ; implicit-def: $vgpr5
                                        ; implicit-def: $vgpr4
	v_cmpx_gt_u32_e32 5, v0
	s_xor_b32 s2, exec_lo, s2
; %bb.26:
	v_lshl_add_u32 v5, v0, 5, v3
	v_mad_u32_u24 v4, v0, 5, 1
	s_mov_b32 s1, exec_lo
; %bb.27:
	s_or_b32 exec_lo, exec_lo, s2
	s_delay_alu instid0(SALU_CYCLE_1)
	s_and_b32 vcc_lo, exec_lo, s0
	s_cbranch_vccnz .LBB31_29
	s_branch .LBB31_38
.LBB31_28:
	s_mov_b32 s1, 0
                                        ; implicit-def: $vgpr5
                                        ; implicit-def: $vgpr4
	s_cbranch_execz .LBB31_38
.LBB31_29:
	v_cmp_gt_u32_e32 vcc_lo, 10, v0
	s_and_saveexec_b32 s0, vcc_lo
	s_cbranch_execz .LBB31_31
; %bb.30:
	ds_load_2addr_b64 v[4:7], v3 offset1:40
	s_waitcnt lgkmcnt(0)
	v_dual_add_f32 v4, v6, v4 :: v_dual_add_f32 v5, v7, v5
	ds_store_b64 v3, v[4:5]
.LBB31_31:
	s_or_b32 exec_lo, exec_lo, s0
	s_delay_alu instid0(SALU_CYCLE_1)
	s_mov_b32 s2, exec_lo
	s_waitcnt lgkmcnt(0)
	buffer_gl0_inv
	v_cmpx_gt_u32_e32 20, v0
	s_cbranch_execz .LBB31_33
; %bb.32:
	ds_load_2addr_b64 v[4:7], v3 offset1:20
	s_waitcnt lgkmcnt(0)
	v_dual_add_f32 v4, v6, v4 :: v_dual_add_f32 v5, v7, v5
	ds_store_b64 v3, v[4:5]
.LBB31_33:
	s_or_b32 exec_lo, exec_lo, s2
	s_waitcnt lgkmcnt(0)
	buffer_gl0_inv
	s_and_saveexec_b32 s0, vcc_lo
	s_cbranch_execz .LBB31_35
; %bb.34:
	ds_load_2addr_b64 v[4:7], v3 offset1:10
	s_waitcnt lgkmcnt(0)
	v_dual_add_f32 v4, v6, v4 :: v_dual_add_f32 v5, v7, v5
	ds_store_b64 v3, v[4:5]
.LBB31_35:
	s_or_b32 exec_lo, exec_lo, s0
	s_delay_alu instid0(SALU_CYCLE_1)
	s_mov_b32 s0, exec_lo
	s_waitcnt lgkmcnt(0)
	buffer_gl0_inv
                                        ; implicit-def: $vgpr4
	v_cmpx_gt_u32_e32 5, v0
; %bb.36:
	v_add_nc_u32_e32 v4, 5, v0
	s_or_b32 s1, s1, exec_lo
                                        ; implicit-def: $vgpr2
; %bb.37:
	s_or_b32 exec_lo, exec_lo, s0
	v_mov_b32_e32 v5, v3
.LBB31_38:
	s_and_saveexec_b32 s0, s1
	s_cbranch_execnz .LBB31_41
; %bb.39:
	s_or_b32 exec_lo, exec_lo, s0
	v_cmp_gt_u32_e32 vcc_lo, 5, v0
	s_and_b32 exec_lo, exec_lo, vcc_lo
	s_cbranch_execnz .LBB31_42
.LBB31_40:
	s_nop 0
	s_sendmsg sendmsg(MSG_DEALLOC_VGPRS)
	s_endpgm
.LBB31_41:
	v_lshlrev_b32_e32 v3, 3, v4
	ds_load_2addr_b32 v[1:2], v5 offset1:1
	ds_load_b64 v[3:4], v3
	s_waitcnt lgkmcnt(0)
	v_dual_add_f32 v2, v4, v2 :: v_dual_add_f32 v1, v3, v1
	s_or_b32 exec_lo, exec_lo, s0
	v_cmp_gt_u32_e32 vcc_lo, 5, v0
	s_and_b32 exec_lo, exec_lo, vcc_lo
	s_cbranch_execz .LBB31_40
.LBB31_42:
	v_mul_f32_e64 v3, v2, -v11
	v_mul_f32_e32 v4, v2, v10
	v_cmp_eq_f32_e32 vcc_lo, 0, v8
	v_cmp_eq_f32_e64 s0, 0, v9
	s_delay_alu instid0(VALU_DEP_4) | instskip(NEXT) | instid1(VALU_DEP_4)
	v_fmac_f32_e32 v3, v10, v1
	v_fmac_f32_e32 v4, v11, v1
	s_delay_alu instid0(VALU_DEP_3) | instskip(NEXT) | instid1(SALU_CYCLE_1)
	s_and_b32 s0, vcc_lo, s0
	s_and_saveexec_b32 s1, s0
	s_delay_alu instid0(SALU_CYCLE_1)
	s_xor_b32 s0, exec_lo, s1
	s_cbranch_execz .LBB31_44
; %bb.43:
	v_mad_u64_u32 v[1:2], null, s8, 5, v[0:1]
	v_mov_b32_e32 v2, 0
                                        ; implicit-def: $vgpr8
                                        ; implicit-def: $vgpr9
	s_delay_alu instid0(VALU_DEP_1) | instskip(NEXT) | instid1(VALU_DEP_1)
	v_lshlrev_b64 v[0:1], 3, v[1:2]
	v_add_co_u32 v0, vcc_lo, s4, v0
	s_delay_alu instid0(VALU_DEP_2)
	v_add_co_ci_u32_e32 v1, vcc_lo, s5, v1, vcc_lo
	global_store_b64 v[0:1], v[3:4], off
                                        ; implicit-def: $vgpr0
                                        ; implicit-def: $vgpr3
.LBB31_44:
	s_and_not1_saveexec_b32 s0, s0
	s_cbranch_execz .LBB31_40
; %bb.45:
	v_mad_u64_u32 v[1:2], null, s8, 5, v[0:1]
	v_mov_b32_e32 v2, 0
	s_delay_alu instid0(VALU_DEP_1) | instskip(NEXT) | instid1(VALU_DEP_1)
	v_lshlrev_b64 v[0:1], 3, v[1:2]
	v_add_co_u32 v0, vcc_lo, s4, v0
	s_delay_alu instid0(VALU_DEP_2) | instskip(SKIP_4) | instid1(VALU_DEP_2)
	v_add_co_ci_u32_e32 v1, vcc_lo, s5, v1, vcc_lo
	global_load_b64 v[5:6], v[0:1], off
	s_waitcnt vmcnt(0)
	v_fmac_f32_e32 v3, v8, v5
	v_fmac_f32_e32 v4, v9, v5
	v_fma_f32 v3, -v9, v6, v3
	s_delay_alu instid0(VALU_DEP_2)
	v_fmac_f32_e32 v4, v8, v6
	global_store_b64 v[0:1], v[3:4], off
	s_nop 0
	s_sendmsg sendmsg(MSG_DEALLOC_VGPRS)
	s_endpgm
	.section	.rodata,"a",@progbits
	.p2align	6, 0x0
	.amdhsa_kernel _ZN9rocsparseL18bsrxmvn_5x5_kernelILj50E21rocsparse_complex_numIfElifS2_S2_EEvT2_20rocsparse_direction_NS_24const_host_device_scalarIT0_EES3_PKS3_PKT1_SC_S9_PKT3_PKT4_S7_PT5_21rocsparse_index_base_b
		.amdhsa_group_segment_fixed_size 400
		.amdhsa_private_segment_fixed_size 0
		.amdhsa_kernarg_size 96
		.amdhsa_user_sgpr_count 15
		.amdhsa_user_sgpr_dispatch_ptr 0
		.amdhsa_user_sgpr_queue_ptr 0
		.amdhsa_user_sgpr_kernarg_segment_ptr 1
		.amdhsa_user_sgpr_dispatch_id 0
		.amdhsa_user_sgpr_private_segment_size 0
		.amdhsa_wavefront_size32 1
		.amdhsa_uses_dynamic_stack 0
		.amdhsa_enable_private_segment 0
		.amdhsa_system_sgpr_workgroup_id_x 1
		.amdhsa_system_sgpr_workgroup_id_y 0
		.amdhsa_system_sgpr_workgroup_id_z 0
		.amdhsa_system_sgpr_workgroup_info 0
		.amdhsa_system_vgpr_workitem_id 0
		.amdhsa_next_free_vgpr 17
		.amdhsa_next_free_sgpr 20
		.amdhsa_reserve_vcc 1
		.amdhsa_float_round_mode_32 0
		.amdhsa_float_round_mode_16_64 0
		.amdhsa_float_denorm_mode_32 3
		.amdhsa_float_denorm_mode_16_64 3
		.amdhsa_dx10_clamp 1
		.amdhsa_ieee_mode 1
		.amdhsa_fp16_overflow 0
		.amdhsa_workgroup_processor_mode 1
		.amdhsa_memory_ordered 1
		.amdhsa_forward_progress 0
		.amdhsa_shared_vgpr_count 0
		.amdhsa_exception_fp_ieee_invalid_op 0
		.amdhsa_exception_fp_denorm_src 0
		.amdhsa_exception_fp_ieee_div_zero 0
		.amdhsa_exception_fp_ieee_overflow 0
		.amdhsa_exception_fp_ieee_underflow 0
		.amdhsa_exception_fp_ieee_inexact 0
		.amdhsa_exception_int_div_zero 0
	.end_amdhsa_kernel
	.section	.text._ZN9rocsparseL18bsrxmvn_5x5_kernelILj50E21rocsparse_complex_numIfElifS2_S2_EEvT2_20rocsparse_direction_NS_24const_host_device_scalarIT0_EES3_PKS3_PKT1_SC_S9_PKT3_PKT4_S7_PT5_21rocsparse_index_base_b,"axG",@progbits,_ZN9rocsparseL18bsrxmvn_5x5_kernelILj50E21rocsparse_complex_numIfElifS2_S2_EEvT2_20rocsparse_direction_NS_24const_host_device_scalarIT0_EES3_PKS3_PKT1_SC_S9_PKT3_PKT4_S7_PT5_21rocsparse_index_base_b,comdat
.Lfunc_end31:
	.size	_ZN9rocsparseL18bsrxmvn_5x5_kernelILj50E21rocsparse_complex_numIfElifS2_S2_EEvT2_20rocsparse_direction_NS_24const_host_device_scalarIT0_EES3_PKS3_PKT1_SC_S9_PKT3_PKT4_S7_PT5_21rocsparse_index_base_b, .Lfunc_end31-_ZN9rocsparseL18bsrxmvn_5x5_kernelILj50E21rocsparse_complex_numIfElifS2_S2_EEvT2_20rocsparse_direction_NS_24const_host_device_scalarIT0_EES3_PKS3_PKT1_SC_S9_PKT3_PKT4_S7_PT5_21rocsparse_index_base_b
                                        ; -- End function
	.section	.AMDGPU.csdata,"",@progbits
; Kernel info:
; codeLenInByte = 1792
; NumSgprs: 22
; NumVgprs: 17
; ScratchSize: 0
; MemoryBound: 0
; FloatMode: 240
; IeeeMode: 1
; LDSByteSize: 400 bytes/workgroup (compile time only)
; SGPRBlocks: 2
; VGPRBlocks: 2
; NumSGPRsForWavesPerEU: 22
; NumVGPRsForWavesPerEU: 17
; Occupancy: 16
; WaveLimiterHint : 1
; COMPUTE_PGM_RSRC2:SCRATCH_EN: 0
; COMPUTE_PGM_RSRC2:USER_SGPR: 15
; COMPUTE_PGM_RSRC2:TRAP_HANDLER: 0
; COMPUTE_PGM_RSRC2:TGID_X_EN: 1
; COMPUTE_PGM_RSRC2:TGID_Y_EN: 0
; COMPUTE_PGM_RSRC2:TGID_Z_EN: 0
; COMPUTE_PGM_RSRC2:TIDIG_COMP_CNT: 0
	.section	.text._ZN9rocsparseL18bsrxmvn_5x5_kernelILj50E21rocsparse_complex_numIfEllfS2_S2_EEvT2_20rocsparse_direction_NS_24const_host_device_scalarIT0_EES3_PKS3_PKT1_SC_S9_PKT3_PKT4_S7_PT5_21rocsparse_index_base_b,"axG",@progbits,_ZN9rocsparseL18bsrxmvn_5x5_kernelILj50E21rocsparse_complex_numIfEllfS2_S2_EEvT2_20rocsparse_direction_NS_24const_host_device_scalarIT0_EES3_PKS3_PKT1_SC_S9_PKT3_PKT4_S7_PT5_21rocsparse_index_base_b,comdat
	.globl	_ZN9rocsparseL18bsrxmvn_5x5_kernelILj50E21rocsparse_complex_numIfEllfS2_S2_EEvT2_20rocsparse_direction_NS_24const_host_device_scalarIT0_EES3_PKS3_PKT1_SC_S9_PKT3_PKT4_S7_PT5_21rocsparse_index_base_b ; -- Begin function _ZN9rocsparseL18bsrxmvn_5x5_kernelILj50E21rocsparse_complex_numIfEllfS2_S2_EEvT2_20rocsparse_direction_NS_24const_host_device_scalarIT0_EES3_PKS3_PKT1_SC_S9_PKT3_PKT4_S7_PT5_21rocsparse_index_base_b
	.p2align	8
	.type	_ZN9rocsparseL18bsrxmvn_5x5_kernelILj50E21rocsparse_complex_numIfEllfS2_S2_EEvT2_20rocsparse_direction_NS_24const_host_device_scalarIT0_EES3_PKS3_PKT1_SC_S9_PKT3_PKT4_S7_PT5_21rocsparse_index_base_b,@function
_ZN9rocsparseL18bsrxmvn_5x5_kernelILj50E21rocsparse_complex_numIfEllfS2_S2_EEvT2_20rocsparse_direction_NS_24const_host_device_scalarIT0_EES3_PKS3_PKT1_SC_S9_PKT3_PKT4_S7_PT5_21rocsparse_index_base_b: ; @_ZN9rocsparseL18bsrxmvn_5x5_kernelILj50E21rocsparse_complex_numIfEllfS2_S2_EEvT2_20rocsparse_direction_NS_24const_host_device_scalarIT0_EES3_PKS3_PKT1_SC_S9_PKT3_PKT4_S7_PT5_21rocsparse_index_base_b
; %bb.0:
	s_clause 0x2
	s_load_b64 s[10:11], s[0:1], 0x60
	s_load_b64 s[4:5], s[0:1], 0x10
	;; [unrolled: 1-line block ×3, first 2 shown]
	s_mov_b32 s8, s15
	s_waitcnt lgkmcnt(0)
	s_bitcmp1_b32 s11, 0
	v_mov_b32_e32 v12, s4
	s_cselect_b32 s6, -1, 0
	s_delay_alu instid0(SALU_CYCLE_1)
	s_and_b32 vcc_lo, exec_lo, s6
	s_xor_b32 s6, s6, -1
	s_cbranch_vccz .LBB32_12
; %bb.1:
	v_cndmask_b32_e64 v1, 0, 1, s6
	v_mov_b32_e32 v13, s5
	s_and_not1_b32 vcc_lo, exec_lo, s6
	s_cbranch_vccz .LBB32_13
.LBB32_2:
	s_delay_alu instid0(VALU_DEP_2)
	v_cmp_ne_u32_e32 vcc_lo, 1, v1
	v_mov_b32_e32 v10, s2
	s_cbranch_vccz .LBB32_14
.LBB32_3:
	v_cmp_ne_u32_e32 vcc_lo, 1, v1
	v_mov_b32_e32 v11, s3
	s_cbranch_vccnz .LBB32_5
.LBB32_4:
	v_dual_mov_b32 v1, s2 :: v_dual_mov_b32 v2, s3
	flat_load_b32 v11, v[1:2] offset:4
.LBB32_5:
	s_waitcnt vmcnt(0) lgkmcnt(0)
	v_cmp_eq_f32_e32 vcc_lo, 0, v12
	v_cmp_eq_f32_e64 s2, 0, v13
	s_delay_alu instid0(VALU_DEP_1)
	s_and_b32 s4, vcc_lo, s2
	s_mov_b32 s2, -1
	s_and_saveexec_b32 s3, s4
; %bb.6:
	v_cmp_neq_f32_e32 vcc_lo, 1.0, v10
	v_cmp_neq_f32_e64 s2, 0, v11
	s_delay_alu instid0(VALU_DEP_1) | instskip(NEXT) | instid1(SALU_CYCLE_1)
	s_or_b32 s2, vcc_lo, s2
	s_or_not1_b32 s2, s2, exec_lo
; %bb.7:
	s_or_b32 exec_lo, exec_lo, s3
	s_and_saveexec_b32 s3, s2
	s_cbranch_execz .LBB32_43
; %bb.8:
	s_clause 0x1
	s_load_b128 s[4:7], s[0:1], 0x20
	s_load_b64 s[12:13], s[0:1], 0x30
	s_mov_b32 s9, 0
	s_waitcnt lgkmcnt(0)
	s_cmp_eq_u64 s[4:5], 0
	s_cbranch_scc1 .LBB32_10
; %bb.9:
	s_lshl_b64 s[2:3], s[8:9], 3
	s_delay_alu instid0(SALU_CYCLE_1)
	s_add_u32 s2, s4, s2
	s_addc_u32 s3, s5, s3
	s_load_b64 s[2:3], s[2:3], 0x0
	s_waitcnt lgkmcnt(0)
	s_sub_u32 s8, s2, s10
	s_subb_u32 s9, s3, 0
.LBB32_10:
	s_load_b32 s3, s[0:1], 0x8
	v_mul_u32_u24_e32 v1, 0x3334, v0
	s_delay_alu instid0(VALU_DEP_1) | instskip(NEXT) | instid1(VALU_DEP_1)
	v_lshrrev_b32_e32 v4, 16, v1
	v_mul_lo_u16 v2, v4, 5
	s_waitcnt lgkmcnt(0)
	s_cmp_eq_u32 s3, 1
	s_cselect_b32 s2, -1, 0
	s_cmp_lg_u32 s3, 1
	s_cselect_b32 s11, -1, 0
	s_lshl_b64 s[4:5], s[8:9], 3
	s_delay_alu instid0(SALU_CYCLE_1)
	s_add_u32 s6, s6, s4
	s_addc_u32 s7, s7, s5
	s_add_u32 s3, s6, 8
	s_addc_u32 s14, s7, 0
	s_add_u32 s4, s12, s4
	s_addc_u32 s5, s13, s5
	s_cmp_eq_u64 s[12:13], 0
	s_cselect_b32 s5, s14, s5
	s_cselect_b32 s4, s3, s4
	s_load_b64 s[6:7], s[6:7], 0x0
	s_load_b64 s[12:13], s[4:5], 0x0
	s_waitcnt lgkmcnt(0)
	v_cmp_lt_i64_e64 s3, s[6:7], s[12:13]
	s_delay_alu instid0(VALU_DEP_1)
	s_and_b32 vcc_lo, exec_lo, s3
	s_cbranch_vccnz .LBB32_15
; %bb.11:
	v_mov_b32_e32 v1, 0
	s_mov_b32 s3, 0
	s_branch .LBB32_16
.LBB32_12:
	v_dual_mov_b32 v1, s4 :: v_dual_mov_b32 v2, s5
	flat_load_b32 v12, v[1:2]
	v_cndmask_b32_e64 v1, 0, 1, s6
	v_mov_b32_e32 v13, s5
	s_and_not1_b32 vcc_lo, exec_lo, s6
	s_cbranch_vccnz .LBB32_2
.LBB32_13:
	v_dual_mov_b32 v2, s4 :: v_dual_mov_b32 v3, s5
	flat_load_b32 v13, v[2:3] offset:4
	v_cmp_ne_u32_e32 vcc_lo, 1, v1
	v_mov_b32_e32 v10, s2
	s_cbranch_vccnz .LBB32_3
.LBB32_14:
	v_dual_mov_b32 v2, s2 :: v_dual_mov_b32 v3, s3
	flat_load_b32 v10, v[2:3]
	v_cmp_ne_u32_e32 vcc_lo, 1, v1
	v_mov_b32_e32 v11, s3
	s_cbranch_vccz .LBB32_4
	s_branch .LBB32_5
.LBB32_15:
	s_mov_b32 s3, -1
.LBB32_16:
	s_load_b64 s[4:5], s[0:1], 0x58
	v_cndmask_b32_e64 v5, 0, 1, s3
	v_mov_b32_e32 v3, s3
	v_sub_nc_u16 v14, v0, v2
	v_mov_b32_e32 v2, s3
	s_delay_alu instid0(VALU_DEP_4)
	v_cmp_ne_u32_e32 vcc_lo, 1, v5
	s_cbranch_vccnz .LBB32_21
; %bb.17:
	v_mul_lo_u16 v2, v4, 52
	v_mov_b32_e32 v1, 0
	s_clause 0x1
	s_load_b64 s[14:15], s[0:1], 0x48
	s_load_b128 s[16:19], s[0:1], 0x38
	s_mul_hi_u32 s1, s10, 0x64
	v_lshrrev_b16 v5, 8, v2
	v_dual_mov_b32 v3, v1 :: v_dual_lshlrev_b32 v2, 2, v0
	v_and_b32_e32 v8, 0xffff, v0
	s_sub_u32 s0, s12, s10
	s_delay_alu instid0(VALU_DEP_3) | instskip(NEXT) | instid1(VALU_DEP_3)
	v_mul_lo_u16 v5, v5, 5
	v_mad_u64_u32 v[6:7], null, 0x64, s6, v[2:3]
	v_and_b32_e32 v3, 0xffff, v14
	s_delay_alu instid0(VALU_DEP_3) | instskip(SKIP_1) | instid1(VALU_DEP_2)
	v_sub_nc_u16 v2, v4, v5
	v_mul_u32_u24_e32 v4, 0xa3e, v8
	v_dual_mov_b32 v2, v7 :: v_dual_and_b32 v5, 0xff, v2
	s_delay_alu instid0(VALU_DEP_2) | instskip(NEXT) | instid1(VALU_DEP_2)
	v_lshrrev_b32_e32 v15, 16, v4
	v_cndmask_b32_e64 v5, v3, v5, s2
	s_delay_alu instid0(VALU_DEP_3) | instskip(NEXT) | instid1(VALU_DEP_3)
	v_mad_u64_u32 v[3:4], null, 0x64, s7, v[2:3]
	v_add_co_u32 v7, s3, s6, v15
	s_delay_alu instid0(VALU_DEP_3) | instskip(SKIP_2) | instid1(VALU_DEP_4)
	v_lshlrev_b32_e32 v2, 3, v5
	v_add_co_ci_u32_e64 v8, null, s7, 0, s3
	s_mul_i32 s2, s10, 0x64
	v_mov_b32_e32 v9, v3
	s_waitcnt lgkmcnt(0)
	v_add_co_u32 v4, s3, s14, v2
	v_sub_co_u32 v2, vcc_lo, v7, s10
	v_subrev_co_ci_u32_e32 v3, vcc_lo, 0, v8, vcc_lo
	v_sub_co_u32 v6, vcc_lo, v6, s2
	v_subrev_co_ci_u32_e32 v7, vcc_lo, s1, v9, vcc_lo
	s_delay_alu instid0(VALU_DEP_3) | instskip(NEXT) | instid1(VALU_DEP_3)
	v_lshlrev_b64 v[2:3], 3, v[2:3]
	v_add_co_u32 v6, vcc_lo, s18, v6
	s_delay_alu instid0(VALU_DEP_3) | instskip(SKIP_1) | instid1(VALU_DEP_4)
	v_add_co_ci_u32_e32 v7, vcc_lo, s19, v7, vcc_lo
	v_add_co_ci_u32_e64 v5, null, s15, 0, s3
	v_add_co_u32 v8, vcc_lo, s16, v2
	v_add_co_ci_u32_e32 v9, vcc_lo, s17, v3, vcc_lo
	v_mov_b32_e32 v3, v1
	v_mov_b32_e32 v2, v1
	s_subb_u32 s1, s13, 0
	s_sub_u32 s2, s6, s10
	s_subb_u32 s3, s7, 0
	s_set_inst_prefetch_distance 0x1
	s_branch .LBB32_19
	.p2align	6
.LBB32_18:                              ;   in Loop: Header=BB32_19 Depth=1
	s_or_b32 exec_lo, exec_lo, s6
	s_add_u32 s2, s2, 2
	s_addc_u32 s3, s3, 0
	v_add_co_u32 v6, vcc_lo, 0xc8, v6
	v_cmp_ge_i64_e64 s6, s[2:3], s[0:1]
	v_add_co_ci_u32_e32 v7, vcc_lo, 0, v7, vcc_lo
	v_add_co_u32 v8, vcc_lo, v8, 16
	v_add_co_ci_u32_e32 v9, vcc_lo, 0, v9, vcc_lo
	s_delay_alu instid0(VALU_DEP_4)
	s_and_b32 vcc_lo, exec_lo, s6
	s_cbranch_vccnz .LBB32_21
.LBB32_19:                              ; =>This Inner Loop Header: Depth=1
	v_add_co_u32 v16, s6, v15, s2
	s_delay_alu instid0(VALU_DEP_1) | instskip(SKIP_1) | instid1(VALU_DEP_1)
	v_add_co_ci_u32_e64 v17, null, 0, s3, s6
	s_mov_b32 s6, exec_lo
	v_cmpx_gt_i64_e64 s[0:1], v[16:17]
	s_cbranch_execz .LBB32_18
; %bb.20:                               ;   in Loop: Header=BB32_19 Depth=1
	global_load_b64 v[16:17], v[8:9], off
	s_waitcnt vmcnt(0)
	v_sub_co_u32 v18, vcc_lo, v16, s10
	v_subrev_co_ci_u32_e32 v20, vcc_lo, 0, v17, vcc_lo
	s_delay_alu instid0(VALU_DEP_2) | instskip(NEXT) | instid1(VALU_DEP_1)
	v_mad_u64_u32 v[16:17], null, v18, 40, v[4:5]
	v_mad_u64_u32 v[18:19], null, v20, 40, v[17:18]
	s_delay_alu instid0(VALU_DEP_1) | instskip(SKIP_4) | instid1(VALU_DEP_1)
	v_mov_b32_e32 v17, v18
	global_load_b32 v18, v[6:7], off
	global_load_b64 v[16:17], v[16:17], off
	s_waitcnt vmcnt(0)
	v_fmac_f32_e32 v2, v18, v16
	v_dual_fmac_f32 v3, 0, v16 :: v_dual_fmac_f32 v2, 0x80000000, v17
	s_delay_alu instid0(VALU_DEP_1)
	v_fmac_f32_e32 v3, v18, v17
	s_branch .LBB32_18
.LBB32_21:
	s_set_inst_prefetch_distance 0x2
	v_lshlrev_b32_e32 v4, 3, v0
	s_and_b32 vcc_lo, exec_lo, s11
	ds_store_b64 v4, v[2:3]
	s_waitcnt lgkmcnt(0)
	buffer_gl0_inv
	s_cbranch_vccz .LBB32_31
; %bb.22:
	s_mov_b32 s0, exec_lo
	v_cmpx_gt_u32_e32 25, v0
	s_cbranch_execz .LBB32_24
; %bb.23:
	ds_load_2addr_b64 v[5:8], v4 offset1:25
	s_waitcnt lgkmcnt(0)
	v_dual_add_f32 v5, v7, v5 :: v_dual_add_f32 v6, v8, v6
	ds_store_b64 v4, v[5:6]
.LBB32_24:
	s_or_b32 exec_lo, exec_lo, s0
	s_delay_alu instid0(SALU_CYCLE_1)
	s_mov_b32 s0, exec_lo
	s_waitcnt lgkmcnt(0)
	buffer_gl0_inv
	v_cmpx_eq_u16_e32 0, v14
	s_cbranch_execz .LBB32_26
; %bb.25:
	ds_load_2addr_b64 v[5:8], v4 offset1:4
	s_waitcnt lgkmcnt(0)
	v_dual_add_f32 v5, v7, v5 :: v_dual_add_f32 v6, v8, v6
	ds_store_b64 v4, v[5:6]
.LBB32_26:
	s_or_b32 exec_lo, exec_lo, s0
	s_delay_alu instid0(SALU_CYCLE_1)
	s_mov_b32 s0, exec_lo
	s_waitcnt lgkmcnt(0)
	buffer_gl0_inv
	v_cmpx_gt_u16_e32 2, v14
	s_cbranch_execz .LBB32_28
; %bb.27:
	ds_load_2addr_b64 v[5:8], v4 offset1:2
	s_waitcnt lgkmcnt(0)
	v_dual_add_f32 v5, v7, v5 :: v_dual_add_f32 v6, v8, v6
	ds_store_b64 v4, v[5:6]
.LBB32_28:
	s_or_b32 exec_lo, exec_lo, s0
	s_mov_b32 s0, 0
	s_mov_b32 s1, 0
	s_mov_b32 s2, exec_lo
	s_waitcnt lgkmcnt(0)
	buffer_gl0_inv
                                        ; implicit-def: $vgpr6
                                        ; implicit-def: $vgpr5
	v_cmpx_gt_u32_e32 5, v0
	s_xor_b32 s2, exec_lo, s2
; %bb.29:
	v_lshl_add_u32 v6, v0, 5, v4
	v_mad_u32_u24 v5, v0, 5, 1
	s_mov_b32 s1, exec_lo
; %bb.30:
	s_or_b32 exec_lo, exec_lo, s2
	s_delay_alu instid0(SALU_CYCLE_1)
	s_and_b32 vcc_lo, exec_lo, s0
	s_cbranch_vccnz .LBB32_32
	s_branch .LBB32_41
.LBB32_31:
	s_mov_b32 s1, 0
                                        ; implicit-def: $vgpr6
                                        ; implicit-def: $vgpr5
	s_cbranch_execz .LBB32_41
.LBB32_32:
	v_cmp_gt_u32_e32 vcc_lo, 10, v0
	s_and_saveexec_b32 s0, vcc_lo
	s_cbranch_execz .LBB32_34
; %bb.33:
	ds_load_2addr_b64 v[5:8], v4 offset1:40
	s_waitcnt lgkmcnt(0)
	v_dual_add_f32 v5, v7, v5 :: v_dual_add_f32 v6, v8, v6
	ds_store_b64 v4, v[5:6]
.LBB32_34:
	s_or_b32 exec_lo, exec_lo, s0
	s_delay_alu instid0(SALU_CYCLE_1)
	s_mov_b32 s2, exec_lo
	s_waitcnt lgkmcnt(0)
	buffer_gl0_inv
	v_cmpx_gt_u32_e32 20, v0
	s_cbranch_execz .LBB32_36
; %bb.35:
	ds_load_2addr_b64 v[5:8], v4 offset1:20
	s_waitcnt lgkmcnt(0)
	v_dual_add_f32 v5, v7, v5 :: v_dual_add_f32 v6, v8, v6
	ds_store_b64 v4, v[5:6]
.LBB32_36:
	s_or_b32 exec_lo, exec_lo, s2
	s_waitcnt lgkmcnt(0)
	buffer_gl0_inv
	s_and_saveexec_b32 s0, vcc_lo
	s_cbranch_execz .LBB32_38
; %bb.37:
	ds_load_2addr_b64 v[5:8], v4 offset1:10
	s_waitcnt lgkmcnt(0)
	v_dual_add_f32 v5, v7, v5 :: v_dual_add_f32 v6, v8, v6
	ds_store_b64 v4, v[5:6]
.LBB32_38:
	s_or_b32 exec_lo, exec_lo, s0
	s_delay_alu instid0(SALU_CYCLE_1)
	s_mov_b32 s0, exec_lo
	s_waitcnt lgkmcnt(0)
	buffer_gl0_inv
                                        ; implicit-def: $vgpr5
	v_cmpx_gt_u32_e32 5, v0
; %bb.39:
	v_add_nc_u32_e32 v5, 5, v0
	s_or_b32 s1, s1, exec_lo
                                        ; implicit-def: $vgpr3
; %bb.40:
	s_or_b32 exec_lo, exec_lo, s0
	v_mov_b32_e32 v6, v4
.LBB32_41:
	s_and_saveexec_b32 s0, s1
	s_cbranch_execnz .LBB32_44
; %bb.42:
	s_or_b32 exec_lo, exec_lo, s0
	v_cmp_gt_u32_e32 vcc_lo, 5, v0
	s_and_b32 exec_lo, exec_lo, vcc_lo
	s_cbranch_execnz .LBB32_45
.LBB32_43:
	s_nop 0
	s_sendmsg sendmsg(MSG_DEALLOC_VGPRS)
	s_endpgm
.LBB32_44:
	v_lshlrev_b32_e32 v4, 3, v5
	ds_load_2addr_b32 v[2:3], v6 offset1:1
	ds_load_b64 v[4:5], v4
	s_waitcnt lgkmcnt(0)
	v_dual_add_f32 v3, v5, v3 :: v_dual_add_f32 v2, v4, v2
	s_or_b32 exec_lo, exec_lo, s0
	v_cmp_gt_u32_e32 vcc_lo, 5, v0
	s_and_b32 exec_lo, exec_lo, vcc_lo
	s_cbranch_execz .LBB32_43
.LBB32_45:
	v_mul_f32_e64 v4, v3, -v13
	v_mul_f32_e32 v5, v3, v12
	v_cmp_eq_f32_e32 vcc_lo, 0, v10
	v_cmp_eq_f32_e64 s0, 0, v11
	v_lshlrev_b64 v[0:1], 3, v[0:1]
	v_fmac_f32_e32 v4, v12, v2
	v_fmac_f32_e32 v5, v13, v2
	s_mul_hi_u32 s1, s8, 40
	s_and_b32 s3, vcc_lo, s0
	s_mul_i32 s0, s9, 40
	s_mul_i32 s2, s8, 40
	s_and_saveexec_b32 s6, s3
	s_delay_alu instid0(SALU_CYCLE_1)
	s_xor_b32 s3, exec_lo, s6
	s_cbranch_execz .LBB32_47
; %bb.46:
	s_add_i32 s6, s1, s0
	s_add_u32 s7, s4, s2
	s_addc_u32 s6, s5, s6
	v_add_co_u32 v0, vcc_lo, s7, v0
	v_add_co_ci_u32_e32 v1, vcc_lo, s6, v1, vcc_lo
                                        ; implicit-def: $vgpr10
                                        ; implicit-def: $vgpr11
	global_store_b64 v[0:1], v[4:5], off
                                        ; implicit-def: $vgpr0_vgpr1
                                        ; implicit-def: $vgpr4
.LBB32_47:
	s_and_not1_saveexec_b32 s3, s3
	s_cbranch_execz .LBB32_43
; %bb.48:
	s_add_i32 s1, s1, s0
	s_add_u32 s0, s4, s2
	s_addc_u32 s1, s5, s1
	v_add_co_u32 v0, vcc_lo, s0, v0
	v_add_co_ci_u32_e32 v1, vcc_lo, s1, v1, vcc_lo
	global_load_b64 v[2:3], v[0:1], off
	s_waitcnt vmcnt(0)
	v_fmac_f32_e32 v4, v10, v2
	v_fmac_f32_e32 v5, v11, v2
	s_delay_alu instid0(VALU_DEP_2) | instskip(NEXT) | instid1(VALU_DEP_2)
	v_fma_f32 v4, -v11, v3, v4
	v_fmac_f32_e32 v5, v10, v3
	global_store_b64 v[0:1], v[4:5], off
	s_nop 0
	s_sendmsg sendmsg(MSG_DEALLOC_VGPRS)
	s_endpgm
	.section	.rodata,"a",@progbits
	.p2align	6, 0x0
	.amdhsa_kernel _ZN9rocsparseL18bsrxmvn_5x5_kernelILj50E21rocsparse_complex_numIfEllfS2_S2_EEvT2_20rocsparse_direction_NS_24const_host_device_scalarIT0_EES3_PKS3_PKT1_SC_S9_PKT3_PKT4_S7_PT5_21rocsparse_index_base_b
		.amdhsa_group_segment_fixed_size 400
		.amdhsa_private_segment_fixed_size 0
		.amdhsa_kernarg_size 104
		.amdhsa_user_sgpr_count 15
		.amdhsa_user_sgpr_dispatch_ptr 0
		.amdhsa_user_sgpr_queue_ptr 0
		.amdhsa_user_sgpr_kernarg_segment_ptr 1
		.amdhsa_user_sgpr_dispatch_id 0
		.amdhsa_user_sgpr_private_segment_size 0
		.amdhsa_wavefront_size32 1
		.amdhsa_uses_dynamic_stack 0
		.amdhsa_enable_private_segment 0
		.amdhsa_system_sgpr_workgroup_id_x 1
		.amdhsa_system_sgpr_workgroup_id_y 0
		.amdhsa_system_sgpr_workgroup_id_z 0
		.amdhsa_system_sgpr_workgroup_info 0
		.amdhsa_system_vgpr_workitem_id 0
		.amdhsa_next_free_vgpr 21
		.amdhsa_next_free_sgpr 20
		.amdhsa_reserve_vcc 1
		.amdhsa_float_round_mode_32 0
		.amdhsa_float_round_mode_16_64 0
		.amdhsa_float_denorm_mode_32 3
		.amdhsa_float_denorm_mode_16_64 3
		.amdhsa_dx10_clamp 1
		.amdhsa_ieee_mode 1
		.amdhsa_fp16_overflow 0
		.amdhsa_workgroup_processor_mode 1
		.amdhsa_memory_ordered 1
		.amdhsa_forward_progress 0
		.amdhsa_shared_vgpr_count 0
		.amdhsa_exception_fp_ieee_invalid_op 0
		.amdhsa_exception_fp_denorm_src 0
		.amdhsa_exception_fp_ieee_div_zero 0
		.amdhsa_exception_fp_ieee_overflow 0
		.amdhsa_exception_fp_ieee_underflow 0
		.amdhsa_exception_fp_ieee_inexact 0
		.amdhsa_exception_int_div_zero 0
	.end_amdhsa_kernel
	.section	.text._ZN9rocsparseL18bsrxmvn_5x5_kernelILj50E21rocsparse_complex_numIfEllfS2_S2_EEvT2_20rocsparse_direction_NS_24const_host_device_scalarIT0_EES3_PKS3_PKT1_SC_S9_PKT3_PKT4_S7_PT5_21rocsparse_index_base_b,"axG",@progbits,_ZN9rocsparseL18bsrxmvn_5x5_kernelILj50E21rocsparse_complex_numIfEllfS2_S2_EEvT2_20rocsparse_direction_NS_24const_host_device_scalarIT0_EES3_PKS3_PKT1_SC_S9_PKT3_PKT4_S7_PT5_21rocsparse_index_base_b,comdat
.Lfunc_end32:
	.size	_ZN9rocsparseL18bsrxmvn_5x5_kernelILj50E21rocsparse_complex_numIfEllfS2_S2_EEvT2_20rocsparse_direction_NS_24const_host_device_scalarIT0_EES3_PKS3_PKT1_SC_S9_PKT3_PKT4_S7_PT5_21rocsparse_index_base_b, .Lfunc_end32-_ZN9rocsparseL18bsrxmvn_5x5_kernelILj50E21rocsparse_complex_numIfEllfS2_S2_EEvT2_20rocsparse_direction_NS_24const_host_device_scalarIT0_EES3_PKS3_PKT1_SC_S9_PKT3_PKT4_S7_PT5_21rocsparse_index_base_b
                                        ; -- End function
	.section	.AMDGPU.csdata,"",@progbits
; Kernel info:
; codeLenInByte = 1820
; NumSgprs: 22
; NumVgprs: 21
; ScratchSize: 0
; MemoryBound: 0
; FloatMode: 240
; IeeeMode: 1
; LDSByteSize: 400 bytes/workgroup (compile time only)
; SGPRBlocks: 2
; VGPRBlocks: 2
; NumSGPRsForWavesPerEU: 22
; NumVGPRsForWavesPerEU: 21
; Occupancy: 16
; WaveLimiterHint : 1
; COMPUTE_PGM_RSRC2:SCRATCH_EN: 0
; COMPUTE_PGM_RSRC2:USER_SGPR: 15
; COMPUTE_PGM_RSRC2:TRAP_HANDLER: 0
; COMPUTE_PGM_RSRC2:TGID_X_EN: 1
; COMPUTE_PGM_RSRC2:TGID_Y_EN: 0
; COMPUTE_PGM_RSRC2:TGID_Z_EN: 0
; COMPUTE_PGM_RSRC2:TIDIG_COMP_CNT: 0
	.section	.text._ZN9rocsparseL18bsrxmvn_5x5_kernelILj50E21rocsparse_complex_numIdEiidS2_S2_EEvT2_20rocsparse_direction_NS_24const_host_device_scalarIT0_EES3_PKS3_PKT1_SC_S9_PKT3_PKT4_S7_PT5_21rocsparse_index_base_b,"axG",@progbits,_ZN9rocsparseL18bsrxmvn_5x5_kernelILj50E21rocsparse_complex_numIdEiidS2_S2_EEvT2_20rocsparse_direction_NS_24const_host_device_scalarIT0_EES3_PKS3_PKT1_SC_S9_PKT3_PKT4_S7_PT5_21rocsparse_index_base_b,comdat
	.globl	_ZN9rocsparseL18bsrxmvn_5x5_kernelILj50E21rocsparse_complex_numIdEiidS2_S2_EEvT2_20rocsparse_direction_NS_24const_host_device_scalarIT0_EES3_PKS3_PKT1_SC_S9_PKT3_PKT4_S7_PT5_21rocsparse_index_base_b ; -- Begin function _ZN9rocsparseL18bsrxmvn_5x5_kernelILj50E21rocsparse_complex_numIdEiidS2_S2_EEvT2_20rocsparse_direction_NS_24const_host_device_scalarIT0_EES3_PKS3_PKT1_SC_S9_PKT3_PKT4_S7_PT5_21rocsparse_index_base_b
	.p2align	8
	.type	_ZN9rocsparseL18bsrxmvn_5x5_kernelILj50E21rocsparse_complex_numIdEiidS2_S2_EEvT2_20rocsparse_direction_NS_24const_host_device_scalarIT0_EES3_PKS3_PKT1_SC_S9_PKT3_PKT4_S7_PT5_21rocsparse_index_base_b,@function
_ZN9rocsparseL18bsrxmvn_5x5_kernelILj50E21rocsparse_complex_numIdEiidS2_S2_EEvT2_20rocsparse_direction_NS_24const_host_device_scalarIT0_EES3_PKS3_PKT1_SC_S9_PKT3_PKT4_S7_PT5_21rocsparse_index_base_b: ; @_ZN9rocsparseL18bsrxmvn_5x5_kernelILj50E21rocsparse_complex_numIdEiidS2_S2_EEvT2_20rocsparse_direction_NS_24const_host_device_scalarIT0_EES3_PKS3_PKT1_SC_S9_PKT3_PKT4_S7_PT5_21rocsparse_index_base_b
; %bb.0:
	s_mov_b32 s12, s15
	s_load_b64 s[14:15], s[2:3], 0x68
	s_load_b64 s[16:17], s[0:1], 0x4
	s_load_b128 s[8:11], s[2:3], 0x8
	v_bfe_u32 v1, v0, 10, 10
	s_mov_b64 s[0:1], src_shared_base
	s_load_b128 s[4:7], s[2:3], 0x50
	v_and_b32_e32 v4, 0x3ff, v0
	v_bfe_u32 v0, v0, 20, 10
	s_waitcnt lgkmcnt(0)
	s_bitcmp1_b32 s15, 0
	v_mul_u32_u24_e32 v1, s17, v1
	s_cselect_b32 s0, -1, 0
	v_mov_b32_e32 v12, s11
	s_and_b32 vcc_lo, s0, exec_lo
	s_cselect_b32 s13, s1, s9
	s_lshr_b32 s15, s16, 16
	v_dual_mov_b32 v2, s4 :: v_dual_mov_b32 v3, s5
	s_mul_i32 s15, s15, s17
	v_dual_mov_b32 v6, s13 :: v_dual_mov_b32 v11, s10
	v_mad_u32_u24 v1, s15, v4, v1
	s_xor_b32 s10, s0, -1
	s_delay_alu instid0(VALU_DEP_1) | instskip(SKIP_1) | instid1(VALU_DEP_2)
	v_add_lshl_u32 v7, v1, v0, 3
	v_dual_mov_b32 v0, s8 :: v_dual_mov_b32 v1, s9
	v_add_nc_u32_e32 v5, 0x4b0, v7
	ds_store_2addr_b64 v7, v[2:3], v[0:1] offset0:100 offset1:150
	v_add_nc_u32_e32 v0, 0x320, v7
	v_cndmask_b32_e64 v5, s8, v5, s0
	flat_load_b64 v[9:10], v[5:6]
	s_cbranch_vccnz .LBB33_2
; %bb.1:
	v_dual_mov_b32 v1, s8 :: v_dual_mov_b32 v2, s9
	flat_load_b64 v[11:12], v[1:2] offset:8
.LBB33_2:
	s_and_b32 s8, s0, exec_lo
	s_cselect_b32 s1, s1, s5
	v_cndmask_b32_e64 v0, s4, v0, s0
	v_dual_mov_b32 v1, s1 :: v_dual_mov_b32 v8, s7
	v_mov_b32_e32 v7, s6
	s_and_not1_b32 vcc_lo, exec_lo, s10
	flat_load_b64 v[5:6], v[0:1]
	s_cbranch_vccnz .LBB33_4
; %bb.3:
	v_dual_mov_b32 v0, s4 :: v_dual_mov_b32 v1, s5
	flat_load_b64 v[7:8], v[0:1] offset:8
.LBB33_4:
	s_waitcnt vmcnt(1) lgkmcnt(1)
	v_cmp_eq_f64_e32 vcc_lo, 0, v[9:10]
	v_cmp_eq_f64_e64 s0, 0, v[11:12]
	s_delay_alu instid0(VALU_DEP_1)
	s_and_b32 s4, vcc_lo, s0
	s_mov_b32 s0, -1
	s_and_saveexec_b32 s1, s4
	s_cbranch_execz .LBB33_6
; %bb.5:
	s_waitcnt vmcnt(0) lgkmcnt(0)
	v_cmp_neq_f64_e32 vcc_lo, 1.0, v[5:6]
	v_cmp_neq_f64_e64 s0, 0, v[7:8]
	s_delay_alu instid0(VALU_DEP_1) | instskip(NEXT) | instid1(SALU_CYCLE_1)
	s_or_b32 s0, vcc_lo, s0
	s_or_not1_b32 s0, s0, exec_lo
.LBB33_6:
	s_or_b32 exec_lo, exec_lo, s1
	s_and_saveexec_b32 s1, s0
	s_cbranch_execz .LBB33_39
; %bb.7:
	s_clause 0x1
	s_load_b128 s[4:7], s[2:3], 0x20
	s_load_b64 s[0:1], s[2:3], 0x30
	s_waitcnt lgkmcnt(0)
	s_cmp_eq_u64 s[4:5], 0
	s_cbranch_scc1 .LBB33_9
; %bb.8:
	s_ashr_i32 s13, s12, 31
	s_delay_alu instid0(SALU_CYCLE_1) | instskip(NEXT) | instid1(SALU_CYCLE_1)
	s_lshl_b64 s[8:9], s[12:13], 2
	s_add_u32 s4, s4, s8
	s_addc_u32 s5, s5, s9
	s_load_b32 s4, s[4:5], 0x0
	s_waitcnt lgkmcnt(0)
	s_sub_i32 s12, s4, s14
.LBB33_9:
	s_load_b32 s4, s[2:3], 0x4
	v_mul_u32_u24_e32 v0, 0x3334, v4
	v_mov_b32_e32 v2, 0
	v_mov_b32_e32 v3, 0
	s_delay_alu instid0(VALU_DEP_3) | instskip(NEXT) | instid1(VALU_DEP_1)
	v_lshrrev_b32_e32 v13, 16, v0
	v_mul_lo_u16 v0, v13, 5
	s_delay_alu instid0(VALU_DEP_1) | instskip(NEXT) | instid1(VALU_DEP_4)
	v_sub_nc_u16 v18, v4, v0
	v_dual_mov_b32 v0, v2 :: v_dual_mov_b32 v1, v3
	s_waitcnt lgkmcnt(0)
	s_cmp_eq_u32 s4, 1
	s_cselect_b32 vcc_lo, -1, 0
	s_cmp_lg_u32 s4, 1
	s_cselect_b32 s8, -1, 0
	s_ashr_i32 s13, s12, 31
	s_delay_alu instid0(SALU_CYCLE_1) | instskip(NEXT) | instid1(SALU_CYCLE_1)
	s_lshl_b64 s[4:5], s[12:13], 2
	s_add_u32 s6, s6, s4
	s_addc_u32 s7, s7, s5
	s_add_u32 s9, s6, 4
	s_addc_u32 s10, s7, 0
	;; [unrolled: 2-line block ×3, first 2 shown]
	s_cmp_eq_u64 s[0:1], 0
	s_cselect_b32 s1, s10, s5
	s_cselect_b32 s0, s9, s4
	s_load_b32 s10, s[6:7], 0x0
	s_load_b32 s9, s[0:1], 0x0
	s_load_b64 s[4:5], s[2:3], 0x60
	s_waitcnt lgkmcnt(0)
	s_cmp_ge_i32 s10, s9
	s_cbranch_scc1 .LBB33_14
; %bb.10:
	v_mul_lo_u16 v0, v13, 52
	s_clause 0x1
	s_load_b64 s[6:7], s[2:3], 0x48
	s_load_b128 s[0:3], s[2:3], 0x38
	v_and_b32_e32 v14, 0xffff, v4
	v_and_b32_e32 v15, 0xffff, v18
	s_mul_i32 s11, s14, 25
	v_lshrrev_b16 v0, 8, v0
	s_sub_i32 s9, s9, s14
	s_delay_alu instid0(VALU_DEP_1) | instskip(SKIP_3) | instid1(VALU_DEP_2)
	v_mul_lo_u16 v2, v0, 5
	s_waitcnt vmcnt(0)
	v_mad_u64_u32 v[0:1], null, s10, 25, v[4:5]
	s_sub_i32 s10, s10, s14
	v_sub_nc_u16 v1, v13, v2
	v_mov_b32_e32 v2, 0
	v_mov_b32_e32 v3, 0
	v_mul_u32_u24_e32 v16, 0xa3e, v14
	v_subrev_nc_u32_e32 v13, s11, v0
	v_dual_mov_b32 v14, 0 :: v_dual_and_b32 v1, 0xff, v1
	s_delay_alu instid0(VALU_DEP_3) | instskip(NEXT) | instid1(VALU_DEP_2)
	v_lshrrev_b32_e32 v19, 16, v16
	v_dual_cndmask_b32 v15, v15, v1 :: v_dual_mov_b32 v0, v2
	v_mov_b32_e32 v1, v3
	s_set_inst_prefetch_distance 0x1
	s_branch .LBB33_12
	.p2align	6
.LBB33_11:                              ;   in Loop: Header=BB33_12 Depth=1
	s_or_b32 exec_lo, exec_lo, s11
	v_add_nc_u32_e32 v13, 50, v13
	s_add_i32 s10, s10, 2
	s_delay_alu instid0(SALU_CYCLE_1)
	s_cmp_ge_i32 s10, s9
	s_cbranch_scc1 .LBB33_14
.LBB33_12:                              ; =>This Inner Loop Header: Depth=1
	v_add_nc_u32_e32 v16, s10, v19
	s_mov_b32 s11, exec_lo
	s_delay_alu instid0(VALU_DEP_1)
	v_cmpx_gt_i32_e64 s9, v16
	s_cbranch_execz .LBB33_11
; %bb.13:                               ;   in Loop: Header=BB33_12 Depth=1
	v_ashrrev_i32_e32 v17, 31, v16
	s_delay_alu instid0(VALU_DEP_1) | instskip(SKIP_1) | instid1(VALU_DEP_1)
	v_lshlrev_b64 v[16:17], 2, v[16:17]
	s_waitcnt lgkmcnt(0)
	v_add_co_u32 v16, vcc_lo, s0, v16
	s_delay_alu instid0(VALU_DEP_2) | instskip(SKIP_3) | instid1(VALU_DEP_1)
	v_add_co_ci_u32_e32 v17, vcc_lo, s1, v17, vcc_lo
	global_load_b32 v16, v[16:17], off
	s_waitcnt vmcnt(0)
	v_subrev_nc_u32_e32 v20, s14, v16
	v_mad_u64_u32 v[16:17], null, v20, 5, v[15:16]
	v_lshlrev_b64 v[20:21], 3, v[13:14]
	s_delay_alu instid0(VALU_DEP_1) | instskip(NEXT) | instid1(VALU_DEP_3)
	v_add_co_u32 v20, vcc_lo, s2, v20
	v_ashrrev_i32_e32 v17, 31, v16
	s_delay_alu instid0(VALU_DEP_3) | instskip(NEXT) | instid1(VALU_DEP_2)
	v_add_co_ci_u32_e32 v21, vcc_lo, s3, v21, vcc_lo
	v_lshlrev_b64 v[16:17], 4, v[16:17]
	s_delay_alu instid0(VALU_DEP_1) | instskip(NEXT) | instid1(VALU_DEP_2)
	v_add_co_u32 v16, vcc_lo, s6, v16
	v_add_co_ci_u32_e32 v17, vcc_lo, s7, v17, vcc_lo
	global_load_b64 v[24:25], v[20:21], off
	global_load_b128 v[20:23], v[16:17], off
	s_waitcnt vmcnt(0)
	v_fma_f64 v[0:1], v[24:25], v[20:21], v[0:1]
	v_fma_f64 v[2:3], v[20:21], 0, v[2:3]
	s_delay_alu instid0(VALU_DEP_2) | instskip(NEXT) | instid1(VALU_DEP_2)
	v_fma_f64 v[0:1], 0x80000000, v[22:23], v[0:1]
	v_fma_f64 v[2:3], v[24:25], v[22:23], v[2:3]
	s_branch .LBB33_11
.LBB33_14:
	s_set_inst_prefetch_distance 0x2
	v_lshlrev_b32_e32 v17, 4, v4
	s_and_b32 vcc_lo, exec_lo, s8
	ds_store_b128 v17, v[0:3]
	s_waitcnt vmcnt(0) lgkmcnt(0)
	buffer_gl0_inv
	s_cbranch_vccz .LBB33_24
; %bb.15:
	s_mov_b32 s0, exec_lo
	v_cmpx_gt_u32_e32 25, v4
	s_cbranch_execz .LBB33_17
; %bb.16:
	ds_load_b128 v[13:16], v17 offset:400
	ds_load_b128 v[19:22], v17
	s_waitcnt lgkmcnt(0)
	v_add_f64 v[13:14], v[13:14], v[19:20]
	v_add_f64 v[15:16], v[15:16], v[21:22]
	ds_store_b128 v17, v[13:16]
.LBB33_17:
	s_or_b32 exec_lo, exec_lo, s0
	s_delay_alu instid0(SALU_CYCLE_1)
	s_mov_b32 s0, exec_lo
	s_waitcnt lgkmcnt(0)
	buffer_gl0_inv
	v_cmpx_eq_u16_e32 0, v18
	s_cbranch_execz .LBB33_19
; %bb.18:
	ds_load_b128 v[13:16], v17 offset:64
	ds_load_b128 v[19:22], v17
	s_waitcnt lgkmcnt(0)
	v_add_f64 v[13:14], v[13:14], v[19:20]
	v_add_f64 v[15:16], v[15:16], v[21:22]
	ds_store_b128 v17, v[13:16]
.LBB33_19:
	s_or_b32 exec_lo, exec_lo, s0
	s_delay_alu instid0(SALU_CYCLE_1)
	s_mov_b32 s0, exec_lo
	s_waitcnt lgkmcnt(0)
	buffer_gl0_inv
	v_cmpx_gt_u16_e32 2, v18
	s_cbranch_execz .LBB33_21
; %bb.20:
	ds_load_b128 v[13:16], v17
	ds_load_b128 v[18:21], v17 offset:32
	s_waitcnt lgkmcnt(0)
	v_add_f64 v[13:14], v[18:19], v[13:14]
	v_add_f64 v[15:16], v[20:21], v[15:16]
	ds_store_b128 v17, v[13:16]
.LBB33_21:
	s_or_b32 exec_lo, exec_lo, s0
	v_dual_mov_b32 v16, v3 :: v_dual_mov_b32 v15, v2
	v_dual_mov_b32 v14, v1 :: v_dual_mov_b32 v13, v0
	s_mov_b32 s0, exec_lo
	s_waitcnt lgkmcnt(0)
	buffer_gl0_inv
	v_cmpx_gt_u32_e32 5, v4
	s_cbranch_execz .LBB33_23
; %bb.22:
	v_lshl_add_u32 v18, v4, 6, v17
	ds_load_b128 v[13:16], v18
	ds_load_b128 v[18:21], v18 offset:16
	s_waitcnt lgkmcnt(0)
	v_add_f64 v[13:14], v[18:19], v[13:14]
	v_add_f64 v[15:16], v[20:21], v[15:16]
.LBB33_23:
	s_or_b32 exec_lo, exec_lo, s0
	s_branch .LBB33_34
.LBB33_24:
                                        ; implicit-def: $vgpr15_vgpr16
                                        ; implicit-def: $vgpr13_vgpr14
	s_cbranch_execz .LBB33_34
; %bb.25:
	v_cmp_gt_u32_e32 vcc_lo, 10, v4
	s_and_saveexec_b32 s0, vcc_lo
	s_cbranch_execz .LBB33_27
; %bb.26:
	ds_load_b128 v[13:16], v17 offset:640
	ds_load_b128 v[18:21], v17
	s_waitcnt lgkmcnt(0)
	v_add_f64 v[13:14], v[13:14], v[18:19]
	v_add_f64 v[15:16], v[15:16], v[20:21]
	ds_store_b128 v17, v[13:16]
.LBB33_27:
	s_or_b32 exec_lo, exec_lo, s0
	s_delay_alu instid0(SALU_CYCLE_1)
	s_mov_b32 s1, exec_lo
	s_waitcnt lgkmcnt(0)
	buffer_gl0_inv
	v_cmpx_gt_u32_e32 20, v4
	s_cbranch_execz .LBB33_29
; %bb.28:
	ds_load_b128 v[13:16], v17 offset:320
	ds_load_b128 v[18:21], v17
	s_waitcnt lgkmcnt(0)
	v_add_f64 v[13:14], v[13:14], v[18:19]
	v_add_f64 v[15:16], v[15:16], v[20:21]
	ds_store_b128 v17, v[13:16]
.LBB33_29:
	s_or_b32 exec_lo, exec_lo, s1
	s_waitcnt lgkmcnt(0)
	buffer_gl0_inv
	s_and_saveexec_b32 s0, vcc_lo
	s_cbranch_execz .LBB33_31
; %bb.30:
	ds_load_b128 v[13:16], v17 offset:160
	ds_load_b128 v[18:21], v17
	s_waitcnt lgkmcnt(0)
	v_add_f64 v[13:14], v[13:14], v[18:19]
	v_add_f64 v[15:16], v[15:16], v[20:21]
	ds_store_b128 v17, v[13:16]
.LBB33_31:
	s_or_b32 exec_lo, exec_lo, s0
	s_delay_alu instid0(SALU_CYCLE_1)
	s_mov_b32 s0, exec_lo
	s_waitcnt lgkmcnt(0)
	buffer_gl0_inv
	v_cmpx_gt_u32_e32 5, v4
	s_cbranch_execz .LBB33_33
; %bb.32:
	ds_load_b128 v[0:3], v17 offset:80
	ds_load_b128 v[13:16], v17
	s_waitcnt lgkmcnt(0)
	v_add_f64 v[0:1], v[0:1], v[13:14]
	v_add_f64 v[2:3], v[2:3], v[15:16]
.LBB33_33:
	s_or_b32 exec_lo, exec_lo, s0
	s_delay_alu instid0(VALU_DEP_1) | instskip(NEXT) | instid1(VALU_DEP_3)
	v_dual_mov_b32 v16, v3 :: v_dual_mov_b32 v15, v2
	v_dual_mov_b32 v14, v1 :: v_dual_mov_b32 v13, v0
.LBB33_34:
	v_cmp_gt_u32_e32 vcc_lo, 5, v4
	s_and_b32 exec_lo, exec_lo, vcc_lo
	s_cbranch_execz .LBB33_39
; %bb.35:
	s_delay_alu instid0(VALU_DEP_2) | instskip(SKIP_3) | instid1(VALU_DEP_4)
	v_mul_f64 v[0:1], v[15:16], -v[11:12]
	v_mul_f64 v[2:3], v[9:10], v[15:16]
	v_cmp_eq_f64_e32 vcc_lo, 0, v[5:6]
	v_cmp_eq_f64_e64 s0, 0, v[7:8]
	v_fma_f64 v[0:1], v[9:10], v[13:14], v[0:1]
	s_delay_alu instid0(VALU_DEP_4) | instskip(NEXT) | instid1(VALU_DEP_3)
	v_fma_f64 v[2:3], v[11:12], v[13:14], v[2:3]
	s_and_b32 s0, vcc_lo, s0
	s_delay_alu instid0(SALU_CYCLE_1) | instskip(NEXT) | instid1(SALU_CYCLE_1)
	s_and_saveexec_b32 s1, s0
	s_xor_b32 s0, exec_lo, s1
	s_cbranch_execz .LBB33_37
; %bb.36:
	v_mad_u64_u32 v[5:6], null, s12, 5, v[4:5]
	v_mov_b32_e32 v6, 0
                                        ; implicit-def: $vgpr7_vgpr8
	s_delay_alu instid0(VALU_DEP_1) | instskip(NEXT) | instid1(VALU_DEP_1)
	v_lshlrev_b64 v[4:5], 4, v[5:6]
	v_add_co_u32 v4, vcc_lo, s4, v4
	s_delay_alu instid0(VALU_DEP_2)
	v_add_co_ci_u32_e32 v5, vcc_lo, s5, v5, vcc_lo
	global_store_b128 v[4:5], v[0:3], off
                                        ; implicit-def: $vgpr4
                                        ; implicit-def: $vgpr5_vgpr6
                                        ; implicit-def: $vgpr0_vgpr1
.LBB33_37:
	s_and_not1_saveexec_b32 s0, s0
	s_cbranch_execz .LBB33_39
; %bb.38:
	v_mad_u64_u32 v[9:10], null, s12, 5, v[4:5]
	v_mov_b32_e32 v10, 0
	s_delay_alu instid0(VALU_DEP_1) | instskip(NEXT) | instid1(VALU_DEP_1)
	v_lshlrev_b64 v[9:10], 4, v[9:10]
	v_add_co_u32 v13, vcc_lo, s4, v9
	s_delay_alu instid0(VALU_DEP_2) | instskip(SKIP_4) | instid1(VALU_DEP_2)
	v_add_co_ci_u32_e32 v14, vcc_lo, s5, v10, vcc_lo
	global_load_b128 v[9:12], v[13:14], off
	s_waitcnt vmcnt(0)
	v_fma_f64 v[0:1], v[5:6], v[9:10], v[0:1]
	v_fma_f64 v[2:3], v[7:8], v[9:10], v[2:3]
	v_fma_f64 v[0:1], -v[7:8], v[11:12], v[0:1]
	s_delay_alu instid0(VALU_DEP_2)
	v_fma_f64 v[2:3], v[5:6], v[11:12], v[2:3]
	global_store_b128 v[13:14], v[0:3], off
.LBB33_39:
	s_nop 0
	s_sendmsg sendmsg(MSG_DEALLOC_VGPRS)
	s_endpgm
	.section	.rodata,"a",@progbits
	.p2align	6, 0x0
	.amdhsa_kernel _ZN9rocsparseL18bsrxmvn_5x5_kernelILj50E21rocsparse_complex_numIdEiidS2_S2_EEvT2_20rocsparse_direction_NS_24const_host_device_scalarIT0_EES3_PKS3_PKT1_SC_S9_PKT3_PKT4_S7_PT5_21rocsparse_index_base_b
		.amdhsa_group_segment_fixed_size 1600
		.amdhsa_private_segment_fixed_size 0
		.amdhsa_kernarg_size 112
		.amdhsa_user_sgpr_count 15
		.amdhsa_user_sgpr_dispatch_ptr 1
		.amdhsa_user_sgpr_queue_ptr 0
		.amdhsa_user_sgpr_kernarg_segment_ptr 1
		.amdhsa_user_sgpr_dispatch_id 0
		.amdhsa_user_sgpr_private_segment_size 0
		.amdhsa_wavefront_size32 1
		.amdhsa_uses_dynamic_stack 0
		.amdhsa_enable_private_segment 0
		.amdhsa_system_sgpr_workgroup_id_x 1
		.amdhsa_system_sgpr_workgroup_id_y 0
		.amdhsa_system_sgpr_workgroup_id_z 0
		.amdhsa_system_sgpr_workgroup_info 0
		.amdhsa_system_vgpr_workitem_id 2
		.amdhsa_next_free_vgpr 26
		.amdhsa_next_free_sgpr 18
		.amdhsa_reserve_vcc 1
		.amdhsa_float_round_mode_32 0
		.amdhsa_float_round_mode_16_64 0
		.amdhsa_float_denorm_mode_32 3
		.amdhsa_float_denorm_mode_16_64 3
		.amdhsa_dx10_clamp 1
		.amdhsa_ieee_mode 1
		.amdhsa_fp16_overflow 0
		.amdhsa_workgroup_processor_mode 1
		.amdhsa_memory_ordered 1
		.amdhsa_forward_progress 0
		.amdhsa_shared_vgpr_count 0
		.amdhsa_exception_fp_ieee_invalid_op 0
		.amdhsa_exception_fp_denorm_src 0
		.amdhsa_exception_fp_ieee_div_zero 0
		.amdhsa_exception_fp_ieee_overflow 0
		.amdhsa_exception_fp_ieee_underflow 0
		.amdhsa_exception_fp_ieee_inexact 0
		.amdhsa_exception_int_div_zero 0
	.end_amdhsa_kernel
	.section	.text._ZN9rocsparseL18bsrxmvn_5x5_kernelILj50E21rocsparse_complex_numIdEiidS2_S2_EEvT2_20rocsparse_direction_NS_24const_host_device_scalarIT0_EES3_PKS3_PKT1_SC_S9_PKT3_PKT4_S7_PT5_21rocsparse_index_base_b,"axG",@progbits,_ZN9rocsparseL18bsrxmvn_5x5_kernelILj50E21rocsparse_complex_numIdEiidS2_S2_EEvT2_20rocsparse_direction_NS_24const_host_device_scalarIT0_EES3_PKS3_PKT1_SC_S9_PKT3_PKT4_S7_PT5_21rocsparse_index_base_b,comdat
.Lfunc_end33:
	.size	_ZN9rocsparseL18bsrxmvn_5x5_kernelILj50E21rocsparse_complex_numIdEiidS2_S2_EEvT2_20rocsparse_direction_NS_24const_host_device_scalarIT0_EES3_PKS3_PKT1_SC_S9_PKT3_PKT4_S7_PT5_21rocsparse_index_base_b, .Lfunc_end33-_ZN9rocsparseL18bsrxmvn_5x5_kernelILj50E21rocsparse_complex_numIdEiidS2_S2_EEvT2_20rocsparse_direction_NS_24const_host_device_scalarIT0_EES3_PKS3_PKT1_SC_S9_PKT3_PKT4_S7_PT5_21rocsparse_index_base_b
                                        ; -- End function
	.section	.AMDGPU.csdata,"",@progbits
; Kernel info:
; codeLenInByte = 1844
; NumSgprs: 20
; NumVgprs: 26
; ScratchSize: 0
; MemoryBound: 0
; FloatMode: 240
; IeeeMode: 1
; LDSByteSize: 1600 bytes/workgroup (compile time only)
; SGPRBlocks: 2
; VGPRBlocks: 3
; NumSGPRsForWavesPerEU: 20
; NumVGPRsForWavesPerEU: 26
; Occupancy: 16
; WaveLimiterHint : 1
; COMPUTE_PGM_RSRC2:SCRATCH_EN: 0
; COMPUTE_PGM_RSRC2:USER_SGPR: 15
; COMPUTE_PGM_RSRC2:TRAP_HANDLER: 0
; COMPUTE_PGM_RSRC2:TGID_X_EN: 1
; COMPUTE_PGM_RSRC2:TGID_Y_EN: 0
; COMPUTE_PGM_RSRC2:TGID_Z_EN: 0
; COMPUTE_PGM_RSRC2:TIDIG_COMP_CNT: 2
	.section	.text._ZN9rocsparseL18bsrxmvn_5x5_kernelILj50E21rocsparse_complex_numIdElidS2_S2_EEvT2_20rocsparse_direction_NS_24const_host_device_scalarIT0_EES3_PKS3_PKT1_SC_S9_PKT3_PKT4_S7_PT5_21rocsparse_index_base_b,"axG",@progbits,_ZN9rocsparseL18bsrxmvn_5x5_kernelILj50E21rocsparse_complex_numIdElidS2_S2_EEvT2_20rocsparse_direction_NS_24const_host_device_scalarIT0_EES3_PKS3_PKT1_SC_S9_PKT3_PKT4_S7_PT5_21rocsparse_index_base_b,comdat
	.globl	_ZN9rocsparseL18bsrxmvn_5x5_kernelILj50E21rocsparse_complex_numIdElidS2_S2_EEvT2_20rocsparse_direction_NS_24const_host_device_scalarIT0_EES3_PKS3_PKT1_SC_S9_PKT3_PKT4_S7_PT5_21rocsparse_index_base_b ; -- Begin function _ZN9rocsparseL18bsrxmvn_5x5_kernelILj50E21rocsparse_complex_numIdElidS2_S2_EEvT2_20rocsparse_direction_NS_24const_host_device_scalarIT0_EES3_PKS3_PKT1_SC_S9_PKT3_PKT4_S7_PT5_21rocsparse_index_base_b
	.p2align	8
	.type	_ZN9rocsparseL18bsrxmvn_5x5_kernelILj50E21rocsparse_complex_numIdElidS2_S2_EEvT2_20rocsparse_direction_NS_24const_host_device_scalarIT0_EES3_PKS3_PKT1_SC_S9_PKT3_PKT4_S7_PT5_21rocsparse_index_base_b,@function
_ZN9rocsparseL18bsrxmvn_5x5_kernelILj50E21rocsparse_complex_numIdElidS2_S2_EEvT2_20rocsparse_direction_NS_24const_host_device_scalarIT0_EES3_PKS3_PKT1_SC_S9_PKT3_PKT4_S7_PT5_21rocsparse_index_base_b: ; @_ZN9rocsparseL18bsrxmvn_5x5_kernelILj50E21rocsparse_complex_numIdElidS2_S2_EEvT2_20rocsparse_direction_NS_24const_host_device_scalarIT0_EES3_PKS3_PKT1_SC_S9_PKT3_PKT4_S7_PT5_21rocsparse_index_base_b
; %bb.0:
	s_mov_b32 s12, s15
	s_load_b64 s[14:15], s[2:3], 0x68
	s_load_b64 s[16:17], s[0:1], 0x4
	s_load_b128 s[8:11], s[2:3], 0x8
	v_bfe_u32 v1, v0, 10, 10
	s_mov_b64 s[0:1], src_shared_base
	s_load_b128 s[4:7], s[2:3], 0x50
	v_and_b32_e32 v4, 0x3ff, v0
	v_bfe_u32 v0, v0, 20, 10
	s_waitcnt lgkmcnt(0)
	s_bitcmp1_b32 s15, 0
	v_mul_u32_u24_e32 v1, s17, v1
	s_cselect_b32 s0, -1, 0
	v_mov_b32_e32 v12, s11
	s_and_b32 vcc_lo, s0, exec_lo
	s_cselect_b32 s13, s1, s9
	s_lshr_b32 s15, s16, 16
	v_dual_mov_b32 v2, s4 :: v_dual_mov_b32 v3, s5
	s_mul_i32 s15, s15, s17
	v_dual_mov_b32 v6, s13 :: v_dual_mov_b32 v11, s10
	v_mad_u32_u24 v1, s15, v4, v1
	s_xor_b32 s10, s0, -1
	s_delay_alu instid0(VALU_DEP_1) | instskip(SKIP_1) | instid1(VALU_DEP_2)
	v_add_lshl_u32 v7, v1, v0, 3
	v_dual_mov_b32 v0, s8 :: v_dual_mov_b32 v1, s9
	v_add_nc_u32_e32 v5, 0x4b0, v7
	ds_store_2addr_b64 v7, v[2:3], v[0:1] offset0:100 offset1:150
	v_add_nc_u32_e32 v0, 0x320, v7
	v_cndmask_b32_e64 v5, s8, v5, s0
	flat_load_b64 v[9:10], v[5:6]
	s_cbranch_vccnz .LBB34_2
; %bb.1:
	v_dual_mov_b32 v1, s8 :: v_dual_mov_b32 v2, s9
	flat_load_b64 v[11:12], v[1:2] offset:8
.LBB34_2:
	s_and_b32 s8, s0, exec_lo
	s_cselect_b32 s1, s1, s5
	v_cndmask_b32_e64 v0, s4, v0, s0
	v_dual_mov_b32 v1, s1 :: v_dual_mov_b32 v8, s7
	v_mov_b32_e32 v7, s6
	s_and_not1_b32 vcc_lo, exec_lo, s10
	flat_load_b64 v[5:6], v[0:1]
	s_cbranch_vccnz .LBB34_4
; %bb.3:
	v_dual_mov_b32 v0, s4 :: v_dual_mov_b32 v1, s5
	flat_load_b64 v[7:8], v[0:1] offset:8
.LBB34_4:
	s_waitcnt vmcnt(1) lgkmcnt(1)
	v_cmp_eq_f64_e32 vcc_lo, 0, v[9:10]
	v_cmp_eq_f64_e64 s0, 0, v[11:12]
	s_delay_alu instid0(VALU_DEP_1)
	s_and_b32 s4, vcc_lo, s0
	s_mov_b32 s0, -1
	s_and_saveexec_b32 s1, s4
	s_cbranch_execz .LBB34_6
; %bb.5:
	s_waitcnt vmcnt(0) lgkmcnt(0)
	v_cmp_neq_f64_e32 vcc_lo, 1.0, v[5:6]
	v_cmp_neq_f64_e64 s0, 0, v[7:8]
	s_delay_alu instid0(VALU_DEP_1) | instskip(NEXT) | instid1(SALU_CYCLE_1)
	s_or_b32 s0, vcc_lo, s0
	s_or_not1_b32 s0, s0, exec_lo
.LBB34_6:
	s_or_b32 exec_lo, exec_lo, s1
	s_and_saveexec_b32 s1, s0
	s_cbranch_execz .LBB34_39
; %bb.7:
	s_clause 0x1
	s_load_b128 s[4:7], s[2:3], 0x20
	s_load_b64 s[8:9], s[2:3], 0x30
	s_waitcnt lgkmcnt(0)
	s_cmp_eq_u64 s[4:5], 0
	s_cbranch_scc1 .LBB34_9
; %bb.8:
	s_ashr_i32 s13, s12, 31
	s_delay_alu instid0(SALU_CYCLE_1) | instskip(NEXT) | instid1(SALU_CYCLE_1)
	s_lshl_b64 s[0:1], s[12:13], 2
	s_add_u32 s0, s4, s0
	s_addc_u32 s1, s5, s1
	s_load_b32 s0, s[0:1], 0x0
	s_waitcnt lgkmcnt(0)
	s_sub_i32 s12, s0, s14
.LBB34_9:
	s_load_b32 s1, s[2:3], 0x4
	v_mul_u32_u24_e32 v0, 0x3334, v4
	v_mov_b32_e32 v2, 0
	v_mov_b32_e32 v3, 0
	s_delay_alu instid0(VALU_DEP_3) | instskip(NEXT) | instid1(VALU_DEP_1)
	v_lshrrev_b32_e32 v13, 16, v0
	v_mul_lo_u16 v0, v13, 5
	s_delay_alu instid0(VALU_DEP_1) | instskip(NEXT) | instid1(VALU_DEP_4)
	v_sub_nc_u16 v18, v4, v0
	v_dual_mov_b32 v0, v2 :: v_dual_mov_b32 v1, v3
	s_waitcnt lgkmcnt(0)
	s_cmp_eq_u32 s1, 1
	s_cselect_b32 s0, -1, 0
	s_cmp_lg_u32 s1, 1
	s_cselect_b32 s15, -1, 0
	s_ashr_i32 s13, s12, 31
	s_delay_alu instid0(SALU_CYCLE_1) | instskip(NEXT) | instid1(SALU_CYCLE_1)
	s_lshl_b64 s[4:5], s[12:13], 3
	s_add_u32 s6, s6, s4
	s_addc_u32 s7, s7, s5
	s_add_u32 s1, s6, 8
	s_addc_u32 s10, s7, 0
	;; [unrolled: 2-line block ×3, first 2 shown]
	s_cmp_eq_u64 s[8:9], 0
	s_cselect_b32 s5, s10, s5
	s_cselect_b32 s4, s1, s4
	s_load_b64 s[8:9], s[6:7], 0x0
	s_load_b64 s[10:11], s[4:5], 0x0
	;; [unrolled: 1-line block ×3, first 2 shown]
	s_waitcnt lgkmcnt(0)
	v_cmp_ge_i64_e64 s1, s[8:9], s[10:11]
	s_delay_alu instid0(VALU_DEP_1)
	s_and_b32 vcc_lo, exec_lo, s1
	s_cbranch_vccnz .LBB34_14
; %bb.10:
	v_mul_lo_u16 v2, v13, 52
	v_dual_mov_b32 v1, 0 :: v_dual_lshlrev_b32 v0, 3, v4
	s_clause 0x1
	s_load_b64 s[6:7], s[2:3], 0x48
	s_load_b128 s[16:19], s[2:3], 0x38
	s_sub_u32 s2, s10, s14
	v_lshrrev_b16 v14, 8, v2
	v_and_b32_e32 v16, 0xffff, v18
	v_mad_u64_u32 v[2:3], null, 0xc8, s8, v[0:1]
	v_and_b32_e32 v0, 0xffff, v4
	s_delay_alu instid0(VALU_DEP_4) | instskip(SKIP_2) | instid1(VALU_DEP_2)
	v_mul_lo_u16 v1, v14, 5
	s_mul_i32 s3, s14, 0xc8
	s_mul_hi_u32 s1, s14, 0xc8
	v_mul_u32_u24_e32 v14, 0xa3e, v0
	s_delay_alu instid0(VALU_DEP_4) | instskip(SKIP_1) | instid1(VALU_DEP_3)
	v_mov_b32_e32 v0, v3
	v_sub_nc_u16 v1, v13, v1
	v_lshrrev_b32_e32 v19, 16, v14
	s_delay_alu instid0(VALU_DEP_2) | instskip(SKIP_1) | instid1(VALU_DEP_3)
	v_mad_u64_u32 v[14:15], null, 0xc8, s9, v[0:1]
	v_and_b32_e32 v0, 0xff, v1
	v_add_co_u32 v1, s10, s8, v19
	s_delay_alu instid0(VALU_DEP_1) | instskip(NEXT) | instid1(VALU_DEP_3)
	v_add_co_ci_u32_e64 v3, null, s9, 0, s10
	v_cndmask_b32_e64 v13, v16, v0, s0
	s_delay_alu instid0(VALU_DEP_3) | instskip(NEXT) | instid1(VALU_DEP_3)
	v_sub_co_u32 v0, vcc_lo, v1, s14
	v_subrev_co_ci_u32_e32 v1, vcc_lo, 0, v3, vcc_lo
	v_sub_co_u32 v15, vcc_lo, v2, s3
	v_subrev_co_ci_u32_e32 v16, vcc_lo, s1, v14, vcc_lo
	s_delay_alu instid0(VALU_DEP_3)
	v_lshlrev_b64 v[0:1], 2, v[0:1]
	v_mov_b32_e32 v2, 0
	v_mov_b32_e32 v3, 0
	s_waitcnt lgkmcnt(0)
	v_add_co_u32 v14, vcc_lo, s18, v15
	v_add_co_ci_u32_e32 v15, vcc_lo, s19, v16, vcc_lo
	v_add_co_u32 v16, vcc_lo, s16, v0
	v_add_co_ci_u32_e32 v17, vcc_lo, s17, v1, vcc_lo
	v_dual_mov_b32 v0, v2 :: v_dual_mov_b32 v1, v3
	s_subb_u32 s3, s11, 0
	s_sub_u32 s0, s8, s14
	s_subb_u32 s1, s9, 0
	s_set_inst_prefetch_distance 0x1
	s_branch .LBB34_12
	.p2align	6
.LBB34_11:                              ;   in Loop: Header=BB34_12 Depth=1
	s_or_b32 exec_lo, exec_lo, s8
	s_add_u32 s0, s0, 2
	s_addc_u32 s1, s1, 0
	v_add_co_u32 v14, vcc_lo, 0x190, v14
	v_cmp_ge_i64_e64 s8, s[0:1], s[2:3]
	v_add_co_ci_u32_e32 v15, vcc_lo, 0, v15, vcc_lo
	v_add_co_u32 v16, vcc_lo, v16, 8
	v_add_co_ci_u32_e32 v17, vcc_lo, 0, v17, vcc_lo
	s_delay_alu instid0(VALU_DEP_4)
	s_and_b32 vcc_lo, exec_lo, s8
	s_cbranch_vccnz .LBB34_14
.LBB34_12:                              ; =>This Inner Loop Header: Depth=1
	v_add_co_u32 v20, s8, v19, s0
	s_delay_alu instid0(VALU_DEP_1) | instskip(SKIP_1) | instid1(VALU_DEP_1)
	v_add_co_ci_u32_e64 v21, null, 0, s1, s8
	s_mov_b32 s8, exec_lo
	v_cmpx_gt_i64_e64 s[2:3], v[20:21]
	s_cbranch_execz .LBB34_11
; %bb.13:                               ;   in Loop: Header=BB34_12 Depth=1
	global_load_b32 v20, v[16:17], off
	s_waitcnt vmcnt(0)
	v_subrev_nc_u32_e32 v22, s14, v20
	s_delay_alu instid0(VALU_DEP_1) | instskip(NEXT) | instid1(VALU_DEP_1)
	v_mad_u64_u32 v[20:21], null, v22, 5, v[13:14]
	v_ashrrev_i32_e32 v21, 31, v20
	s_delay_alu instid0(VALU_DEP_1) | instskip(NEXT) | instid1(VALU_DEP_1)
	v_lshlrev_b64 v[20:21], 4, v[20:21]
	v_add_co_u32 v20, vcc_lo, s6, v20
	s_delay_alu instid0(VALU_DEP_2)
	v_add_co_ci_u32_e32 v21, vcc_lo, s7, v21, vcc_lo
	global_load_b64 v[24:25], v[14:15], off
	global_load_b128 v[20:23], v[20:21], off
	s_waitcnt vmcnt(0)
	v_fma_f64 v[0:1], v[24:25], v[20:21], v[0:1]
	v_fma_f64 v[2:3], v[20:21], 0, v[2:3]
	s_delay_alu instid0(VALU_DEP_2) | instskip(NEXT) | instid1(VALU_DEP_2)
	v_fma_f64 v[0:1], 0x80000000, v[22:23], v[0:1]
	v_fma_f64 v[2:3], v[24:25], v[22:23], v[2:3]
	s_branch .LBB34_11
.LBB34_14:
	s_set_inst_prefetch_distance 0x2
	v_lshlrev_b32_e32 v17, 4, v4
	s_and_b32 vcc_lo, exec_lo, s15
	ds_store_b128 v17, v[0:3]
	s_waitcnt vmcnt(0) lgkmcnt(0)
	buffer_gl0_inv
	s_cbranch_vccz .LBB34_24
; %bb.15:
	s_mov_b32 s0, exec_lo
	v_cmpx_gt_u32_e32 25, v4
	s_cbranch_execz .LBB34_17
; %bb.16:
	ds_load_b128 v[13:16], v17 offset:400
	ds_load_b128 v[19:22], v17
	s_waitcnt lgkmcnt(0)
	v_add_f64 v[13:14], v[13:14], v[19:20]
	v_add_f64 v[15:16], v[15:16], v[21:22]
	ds_store_b128 v17, v[13:16]
.LBB34_17:
	s_or_b32 exec_lo, exec_lo, s0
	s_delay_alu instid0(SALU_CYCLE_1)
	s_mov_b32 s0, exec_lo
	s_waitcnt lgkmcnt(0)
	buffer_gl0_inv
	v_cmpx_eq_u16_e32 0, v18
	s_cbranch_execz .LBB34_19
; %bb.18:
	ds_load_b128 v[13:16], v17 offset:64
	ds_load_b128 v[19:22], v17
	s_waitcnt lgkmcnt(0)
	v_add_f64 v[13:14], v[13:14], v[19:20]
	v_add_f64 v[15:16], v[15:16], v[21:22]
	ds_store_b128 v17, v[13:16]
.LBB34_19:
	s_or_b32 exec_lo, exec_lo, s0
	s_delay_alu instid0(SALU_CYCLE_1)
	s_mov_b32 s0, exec_lo
	s_waitcnt lgkmcnt(0)
	buffer_gl0_inv
	v_cmpx_gt_u16_e32 2, v18
	s_cbranch_execz .LBB34_21
; %bb.20:
	ds_load_b128 v[13:16], v17
	ds_load_b128 v[18:21], v17 offset:32
	s_waitcnt lgkmcnt(0)
	v_add_f64 v[13:14], v[18:19], v[13:14]
	v_add_f64 v[15:16], v[20:21], v[15:16]
	ds_store_b128 v17, v[13:16]
.LBB34_21:
	s_or_b32 exec_lo, exec_lo, s0
	v_dual_mov_b32 v16, v3 :: v_dual_mov_b32 v15, v2
	v_dual_mov_b32 v14, v1 :: v_dual_mov_b32 v13, v0
	s_mov_b32 s0, exec_lo
	s_waitcnt lgkmcnt(0)
	buffer_gl0_inv
	v_cmpx_gt_u32_e32 5, v4
	s_cbranch_execz .LBB34_23
; %bb.22:
	v_lshl_add_u32 v18, v4, 6, v17
	ds_load_b128 v[13:16], v18
	ds_load_b128 v[18:21], v18 offset:16
	s_waitcnt lgkmcnt(0)
	v_add_f64 v[13:14], v[18:19], v[13:14]
	v_add_f64 v[15:16], v[20:21], v[15:16]
.LBB34_23:
	s_or_b32 exec_lo, exec_lo, s0
	s_branch .LBB34_34
.LBB34_24:
                                        ; implicit-def: $vgpr15_vgpr16
                                        ; implicit-def: $vgpr13_vgpr14
	s_cbranch_execz .LBB34_34
; %bb.25:
	v_cmp_gt_u32_e32 vcc_lo, 10, v4
	s_and_saveexec_b32 s0, vcc_lo
	s_cbranch_execz .LBB34_27
; %bb.26:
	ds_load_b128 v[13:16], v17 offset:640
	ds_load_b128 v[18:21], v17
	s_waitcnt lgkmcnt(0)
	v_add_f64 v[13:14], v[13:14], v[18:19]
	v_add_f64 v[15:16], v[15:16], v[20:21]
	ds_store_b128 v17, v[13:16]
.LBB34_27:
	s_or_b32 exec_lo, exec_lo, s0
	s_delay_alu instid0(SALU_CYCLE_1)
	s_mov_b32 s1, exec_lo
	s_waitcnt lgkmcnt(0)
	buffer_gl0_inv
	v_cmpx_gt_u32_e32 20, v4
	s_cbranch_execz .LBB34_29
; %bb.28:
	ds_load_b128 v[13:16], v17 offset:320
	ds_load_b128 v[18:21], v17
	s_waitcnt lgkmcnt(0)
	v_add_f64 v[13:14], v[13:14], v[18:19]
	v_add_f64 v[15:16], v[15:16], v[20:21]
	ds_store_b128 v17, v[13:16]
.LBB34_29:
	s_or_b32 exec_lo, exec_lo, s1
	s_waitcnt lgkmcnt(0)
	buffer_gl0_inv
	s_and_saveexec_b32 s0, vcc_lo
	s_cbranch_execz .LBB34_31
; %bb.30:
	ds_load_b128 v[13:16], v17 offset:160
	ds_load_b128 v[18:21], v17
	s_waitcnt lgkmcnt(0)
	v_add_f64 v[13:14], v[13:14], v[18:19]
	v_add_f64 v[15:16], v[15:16], v[20:21]
	ds_store_b128 v17, v[13:16]
.LBB34_31:
	s_or_b32 exec_lo, exec_lo, s0
	s_delay_alu instid0(SALU_CYCLE_1)
	s_mov_b32 s0, exec_lo
	s_waitcnt lgkmcnt(0)
	buffer_gl0_inv
	v_cmpx_gt_u32_e32 5, v4
	s_cbranch_execz .LBB34_33
; %bb.32:
	ds_load_b128 v[0:3], v17 offset:80
	ds_load_b128 v[13:16], v17
	s_waitcnt lgkmcnt(0)
	v_add_f64 v[0:1], v[0:1], v[13:14]
	v_add_f64 v[2:3], v[2:3], v[15:16]
.LBB34_33:
	s_or_b32 exec_lo, exec_lo, s0
	s_delay_alu instid0(VALU_DEP_1) | instskip(NEXT) | instid1(VALU_DEP_3)
	v_dual_mov_b32 v16, v3 :: v_dual_mov_b32 v15, v2
	v_dual_mov_b32 v14, v1 :: v_dual_mov_b32 v13, v0
.LBB34_34:
	v_cmp_gt_u32_e32 vcc_lo, 5, v4
	s_and_b32 exec_lo, exec_lo, vcc_lo
	s_cbranch_execz .LBB34_39
; %bb.35:
	s_delay_alu instid0(VALU_DEP_2) | instskip(SKIP_3) | instid1(VALU_DEP_4)
	v_mul_f64 v[0:1], v[15:16], -v[11:12]
	v_mul_f64 v[2:3], v[9:10], v[15:16]
	v_cmp_eq_f64_e32 vcc_lo, 0, v[5:6]
	v_cmp_eq_f64_e64 s0, 0, v[7:8]
	v_fma_f64 v[0:1], v[9:10], v[13:14], v[0:1]
	s_delay_alu instid0(VALU_DEP_4) | instskip(NEXT) | instid1(VALU_DEP_3)
	v_fma_f64 v[2:3], v[11:12], v[13:14], v[2:3]
	s_and_b32 s0, vcc_lo, s0
	s_delay_alu instid0(SALU_CYCLE_1) | instskip(NEXT) | instid1(SALU_CYCLE_1)
	s_and_saveexec_b32 s1, s0
	s_xor_b32 s0, exec_lo, s1
	s_cbranch_execz .LBB34_37
; %bb.36:
	v_mad_u64_u32 v[5:6], null, s12, 5, v[4:5]
	v_mov_b32_e32 v6, 0
                                        ; implicit-def: $vgpr7_vgpr8
	s_delay_alu instid0(VALU_DEP_1) | instskip(NEXT) | instid1(VALU_DEP_1)
	v_lshlrev_b64 v[4:5], 4, v[5:6]
	v_add_co_u32 v4, vcc_lo, s4, v4
	s_delay_alu instid0(VALU_DEP_2)
	v_add_co_ci_u32_e32 v5, vcc_lo, s5, v5, vcc_lo
	global_store_b128 v[4:5], v[0:3], off
                                        ; implicit-def: $vgpr4
                                        ; implicit-def: $vgpr5_vgpr6
                                        ; implicit-def: $vgpr0_vgpr1
.LBB34_37:
	s_and_not1_saveexec_b32 s0, s0
	s_cbranch_execz .LBB34_39
; %bb.38:
	v_mad_u64_u32 v[9:10], null, s12, 5, v[4:5]
	v_mov_b32_e32 v10, 0
	s_delay_alu instid0(VALU_DEP_1) | instskip(NEXT) | instid1(VALU_DEP_1)
	v_lshlrev_b64 v[9:10], 4, v[9:10]
	v_add_co_u32 v13, vcc_lo, s4, v9
	s_delay_alu instid0(VALU_DEP_2) | instskip(SKIP_4) | instid1(VALU_DEP_2)
	v_add_co_ci_u32_e32 v14, vcc_lo, s5, v10, vcc_lo
	global_load_b128 v[9:12], v[13:14], off
	s_waitcnt vmcnt(0)
	v_fma_f64 v[0:1], v[5:6], v[9:10], v[0:1]
	v_fma_f64 v[2:3], v[7:8], v[9:10], v[2:3]
	v_fma_f64 v[0:1], -v[7:8], v[11:12], v[0:1]
	s_delay_alu instid0(VALU_DEP_2)
	v_fma_f64 v[2:3], v[5:6], v[11:12], v[2:3]
	global_store_b128 v[13:14], v[0:3], off
.LBB34_39:
	s_nop 0
	s_sendmsg sendmsg(MSG_DEALLOC_VGPRS)
	s_endpgm
	.section	.rodata,"a",@progbits
	.p2align	6, 0x0
	.amdhsa_kernel _ZN9rocsparseL18bsrxmvn_5x5_kernelILj50E21rocsparse_complex_numIdElidS2_S2_EEvT2_20rocsparse_direction_NS_24const_host_device_scalarIT0_EES3_PKS3_PKT1_SC_S9_PKT3_PKT4_S7_PT5_21rocsparse_index_base_b
		.amdhsa_group_segment_fixed_size 1600
		.amdhsa_private_segment_fixed_size 0
		.amdhsa_kernarg_size 112
		.amdhsa_user_sgpr_count 15
		.amdhsa_user_sgpr_dispatch_ptr 1
		.amdhsa_user_sgpr_queue_ptr 0
		.amdhsa_user_sgpr_kernarg_segment_ptr 1
		.amdhsa_user_sgpr_dispatch_id 0
		.amdhsa_user_sgpr_private_segment_size 0
		.amdhsa_wavefront_size32 1
		.amdhsa_uses_dynamic_stack 0
		.amdhsa_enable_private_segment 0
		.amdhsa_system_sgpr_workgroup_id_x 1
		.amdhsa_system_sgpr_workgroup_id_y 0
		.amdhsa_system_sgpr_workgroup_id_z 0
		.amdhsa_system_sgpr_workgroup_info 0
		.amdhsa_system_vgpr_workitem_id 2
		.amdhsa_next_free_vgpr 26
		.amdhsa_next_free_sgpr 20
		.amdhsa_reserve_vcc 1
		.amdhsa_float_round_mode_32 0
		.amdhsa_float_round_mode_16_64 0
		.amdhsa_float_denorm_mode_32 3
		.amdhsa_float_denorm_mode_16_64 3
		.amdhsa_dx10_clamp 1
		.amdhsa_ieee_mode 1
		.amdhsa_fp16_overflow 0
		.amdhsa_workgroup_processor_mode 1
		.amdhsa_memory_ordered 1
		.amdhsa_forward_progress 0
		.amdhsa_shared_vgpr_count 0
		.amdhsa_exception_fp_ieee_invalid_op 0
		.amdhsa_exception_fp_denorm_src 0
		.amdhsa_exception_fp_ieee_div_zero 0
		.amdhsa_exception_fp_ieee_overflow 0
		.amdhsa_exception_fp_ieee_underflow 0
		.amdhsa_exception_fp_ieee_inexact 0
		.amdhsa_exception_int_div_zero 0
	.end_amdhsa_kernel
	.section	.text._ZN9rocsparseL18bsrxmvn_5x5_kernelILj50E21rocsparse_complex_numIdElidS2_S2_EEvT2_20rocsparse_direction_NS_24const_host_device_scalarIT0_EES3_PKS3_PKT1_SC_S9_PKT3_PKT4_S7_PT5_21rocsparse_index_base_b,"axG",@progbits,_ZN9rocsparseL18bsrxmvn_5x5_kernelILj50E21rocsparse_complex_numIdElidS2_S2_EEvT2_20rocsparse_direction_NS_24const_host_device_scalarIT0_EES3_PKS3_PKT1_SC_S9_PKT3_PKT4_S7_PT5_21rocsparse_index_base_b,comdat
.Lfunc_end34:
	.size	_ZN9rocsparseL18bsrxmvn_5x5_kernelILj50E21rocsparse_complex_numIdElidS2_S2_EEvT2_20rocsparse_direction_NS_24const_host_device_scalarIT0_EES3_PKS3_PKT1_SC_S9_PKT3_PKT4_S7_PT5_21rocsparse_index_base_b, .Lfunc_end34-_ZN9rocsparseL18bsrxmvn_5x5_kernelILj50E21rocsparse_complex_numIdElidS2_S2_EEvT2_20rocsparse_direction_NS_24const_host_device_scalarIT0_EES3_PKS3_PKT1_SC_S9_PKT3_PKT4_S7_PT5_21rocsparse_index_base_b
                                        ; -- End function
	.section	.AMDGPU.csdata,"",@progbits
; Kernel info:
; codeLenInByte = 1980
; NumSgprs: 22
; NumVgprs: 26
; ScratchSize: 0
; MemoryBound: 0
; FloatMode: 240
; IeeeMode: 1
; LDSByteSize: 1600 bytes/workgroup (compile time only)
; SGPRBlocks: 2
; VGPRBlocks: 3
; NumSGPRsForWavesPerEU: 22
; NumVGPRsForWavesPerEU: 26
; Occupancy: 16
; WaveLimiterHint : 1
; COMPUTE_PGM_RSRC2:SCRATCH_EN: 0
; COMPUTE_PGM_RSRC2:USER_SGPR: 15
; COMPUTE_PGM_RSRC2:TRAP_HANDLER: 0
; COMPUTE_PGM_RSRC2:TGID_X_EN: 1
; COMPUTE_PGM_RSRC2:TGID_Y_EN: 0
; COMPUTE_PGM_RSRC2:TGID_Z_EN: 0
; COMPUTE_PGM_RSRC2:TIDIG_COMP_CNT: 2
	.section	.text._ZN9rocsparseL18bsrxmvn_5x5_kernelILj50E21rocsparse_complex_numIdElldS2_S2_EEvT2_20rocsparse_direction_NS_24const_host_device_scalarIT0_EES3_PKS3_PKT1_SC_S9_PKT3_PKT4_S7_PT5_21rocsparse_index_base_b,"axG",@progbits,_ZN9rocsparseL18bsrxmvn_5x5_kernelILj50E21rocsparse_complex_numIdElldS2_S2_EEvT2_20rocsparse_direction_NS_24const_host_device_scalarIT0_EES3_PKS3_PKT1_SC_S9_PKT3_PKT4_S7_PT5_21rocsparse_index_base_b,comdat
	.globl	_ZN9rocsparseL18bsrxmvn_5x5_kernelILj50E21rocsparse_complex_numIdElldS2_S2_EEvT2_20rocsparse_direction_NS_24const_host_device_scalarIT0_EES3_PKS3_PKT1_SC_S9_PKT3_PKT4_S7_PT5_21rocsparse_index_base_b ; -- Begin function _ZN9rocsparseL18bsrxmvn_5x5_kernelILj50E21rocsparse_complex_numIdElldS2_S2_EEvT2_20rocsparse_direction_NS_24const_host_device_scalarIT0_EES3_PKS3_PKT1_SC_S9_PKT3_PKT4_S7_PT5_21rocsparse_index_base_b
	.p2align	8
	.type	_ZN9rocsparseL18bsrxmvn_5x5_kernelILj50E21rocsparse_complex_numIdElldS2_S2_EEvT2_20rocsparse_direction_NS_24const_host_device_scalarIT0_EES3_PKS3_PKT1_SC_S9_PKT3_PKT4_S7_PT5_21rocsparse_index_base_b,@function
_ZN9rocsparseL18bsrxmvn_5x5_kernelILj50E21rocsparse_complex_numIdElldS2_S2_EEvT2_20rocsparse_direction_NS_24const_host_device_scalarIT0_EES3_PKS3_PKT1_SC_S9_PKT3_PKT4_S7_PT5_21rocsparse_index_base_b: ; @_ZN9rocsparseL18bsrxmvn_5x5_kernelILj50E21rocsparse_complex_numIdElldS2_S2_EEvT2_20rocsparse_direction_NS_24const_host_device_scalarIT0_EES3_PKS3_PKT1_SC_S9_PKT3_PKT4_S7_PT5_21rocsparse_index_base_b
; %bb.0:
	s_mov_b32 s12, s15
	s_load_b64 s[14:15], s[2:3], 0x70
	s_load_b64 s[16:17], s[0:1], 0x4
	s_load_b128 s[8:11], s[2:3], 0x10
	v_bfe_u32 v1, v0, 10, 10
	s_mov_b64 s[0:1], src_shared_base
	s_load_b128 s[4:7], s[2:3], 0x58
	v_and_b32_e32 v6, 0x3ff, v0
	v_bfe_u32 v0, v0, 20, 10
	s_waitcnt lgkmcnt(0)
	s_bitcmp1_b32 s15, 0
	v_mul_u32_u24_e32 v1, s17, v1
	s_cselect_b32 s0, -1, 0
	v_mov_b32_e32 v13, s11
	s_and_b32 vcc_lo, s0, exec_lo
	s_cselect_b32 s13, s1, s9
	s_lshr_b32 s15, s16, 16
	v_mov_b32_e32 v2, s4
	s_mul_i32 s15, s15, s17
	v_mov_b32_e32 v12, s10
	v_mad_u32_u24 v1, s15, v6, v1
	s_xor_b32 s10, s0, -1
	v_mov_b32_e32 v5, s13
	v_mov_b32_e32 v3, s5
	s_delay_alu instid0(VALU_DEP_3) | instskip(SKIP_1) | instid1(VALU_DEP_2)
	v_add_lshl_u32 v7, v1, v0, 3
	v_dual_mov_b32 v0, s8 :: v_dual_mov_b32 v1, s9
	v_add_nc_u32_e32 v4, 0x4b0, v7
	ds_store_2addr_b64 v7, v[2:3], v[0:1] offset0:100 offset1:150
	v_add_nc_u32_e32 v0, 0x320, v7
	v_cndmask_b32_e64 v4, s8, v4, s0
	flat_load_b64 v[10:11], v[4:5]
	s_cbranch_vccnz .LBB35_2
; %bb.1:
	v_dual_mov_b32 v1, s8 :: v_dual_mov_b32 v2, s9
	flat_load_b64 v[12:13], v[1:2] offset:8
.LBB35_2:
	s_and_b32 s8, s0, exec_lo
	s_cselect_b32 s1, s1, s5
	v_cndmask_b32_e64 v0, s4, v0, s0
	v_mov_b32_e32 v1, s1
	v_dual_mov_b32 v9, s7 :: v_dual_mov_b32 v8, s6
	s_and_not1_b32 vcc_lo, exec_lo, s10
	flat_load_b64 v[4:5], v[0:1]
	s_cbranch_vccnz .LBB35_4
; %bb.3:
	v_dual_mov_b32 v0, s4 :: v_dual_mov_b32 v1, s5
	flat_load_b64 v[8:9], v[0:1] offset:8
.LBB35_4:
	s_waitcnt vmcnt(1) lgkmcnt(1)
	v_cmp_eq_f64_e32 vcc_lo, 0, v[10:11]
	v_cmp_eq_f64_e64 s0, 0, v[12:13]
	s_delay_alu instid0(VALU_DEP_1)
	s_and_b32 s4, vcc_lo, s0
	s_mov_b32 s0, -1
	s_and_saveexec_b32 s1, s4
	s_cbranch_execz .LBB35_6
; %bb.5:
	s_waitcnt vmcnt(0) lgkmcnt(0)
	v_cmp_neq_f64_e32 vcc_lo, 1.0, v[4:5]
	v_cmp_neq_f64_e64 s0, 0, v[8:9]
	s_delay_alu instid0(VALU_DEP_1) | instskip(NEXT) | instid1(SALU_CYCLE_1)
	s_or_b32 s0, vcc_lo, s0
	s_or_not1_b32 s0, s0, exec_lo
.LBB35_6:
	s_or_b32 exec_lo, exec_lo, s1
	s_and_saveexec_b32 s1, s0
	s_cbranch_execz .LBB35_42
; %bb.7:
	s_clause 0x1
	s_load_b128 s[4:7], s[2:3], 0x28
	s_load_b64 s[8:9], s[2:3], 0x38
	s_mov_b32 s13, 0
	s_waitcnt lgkmcnt(0)
	s_cmp_eq_u64 s[4:5], 0
	s_cbranch_scc1 .LBB35_9
; %bb.8:
	s_lshl_b64 s[0:1], s[12:13], 3
	s_delay_alu instid0(SALU_CYCLE_1)
	s_add_u32 s0, s4, s0
	s_addc_u32 s1, s5, s1
	s_load_b64 s[0:1], s[0:1], 0x0
	s_waitcnt lgkmcnt(0)
	s_sub_u32 s12, s0, s14
	s_subb_u32 s13, s1, 0
.LBB35_9:
	s_load_b32 s1, s[2:3], 0x8
	v_mul_u32_u24_e32 v0, 0x3334, v6
	s_delay_alu instid0(VALU_DEP_1) | instskip(NEXT) | instid1(VALU_DEP_1)
	v_lshrrev_b32_e32 v14, 16, v0
	v_mul_lo_u16 v0, v14, 5
	s_waitcnt lgkmcnt(0)
	s_cmp_eq_u32 s1, 1
	s_cselect_b32 s0, -1, 0
	s_cmp_lg_u32 s1, 1
	s_cselect_b32 s15, -1, 0
	s_lshl_b64 s[4:5], s[12:13], 3
	s_delay_alu instid0(SALU_CYCLE_1)
	s_add_u32 s6, s6, s4
	s_addc_u32 s7, s7, s5
	s_add_u32 s1, s6, 8
	s_addc_u32 s10, s7, 0
	;; [unrolled: 2-line block ×3, first 2 shown]
	s_cmp_eq_u64 s[8:9], 0
	s_cselect_b32 s5, s10, s5
	s_cselect_b32 s4, s1, s4
	s_load_b64 s[6:7], s[6:7], 0x0
	s_load_b64 s[8:9], s[4:5], 0x0
	s_waitcnt lgkmcnt(0)
	v_cmp_lt_i64_e64 s1, s[6:7], s[8:9]
	s_delay_alu instid0(VALU_DEP_1)
	s_and_b32 vcc_lo, exec_lo, s1
	s_cbranch_vccnz .LBB35_11
; %bb.10:
	v_mov_b32_e32 v7, 0
	s_mov_b32 s1, 0
	s_mov_b64 s[10:11], 0
	s_branch .LBB35_12
.LBB35_11:
	s_mov_b32 s1, -1
                                        ; implicit-def: $sgpr10_sgpr11
.LBB35_12:
	s_load_b64 s[4:5], s[2:3], 0x68
	v_dual_mov_b32 v2, s10 :: v_dual_mov_b32 v3, s11
	v_sub_nc_u16 v20, v6, v0
	v_dual_mov_b32 v0, s10 :: v_dual_mov_b32 v1, s11
	s_and_not1_b32 vcc_lo, exec_lo, s1
	s_cbranch_vccnz .LBB35_17
; %bb.13:
	v_mul_lo_u16 v0, v14, 52
	v_mov_b32_e32 v7, 0
	s_clause 0x1
	s_load_b64 s[10:11], s[2:3], 0x50
	s_load_b128 s[16:19], s[2:3], 0x40
	s_mul_i32 s1, s14, 0xc8
	v_lshrrev_b16 v2, 8, v0
	v_dual_mov_b32 v1, v7 :: v_dual_lshlrev_b32 v0, 3, v6
	v_and_b32_e32 v16, 0xffff, v6
	s_sub_u32 s2, s8, s14
	s_delay_alu instid0(VALU_DEP_3) | instskip(NEXT) | instid1(VALU_DEP_3)
	v_mul_lo_u16 v15, v2, 5
	v_mad_u64_u32 v[2:3], null, 0xc8, s6, v[0:1]
	v_and_b32_e32 v1, 0xffff, v20
	s_delay_alu instid0(VALU_DEP_3) | instskip(SKIP_1) | instid1(VALU_DEP_2)
	v_sub_nc_u16 v0, v14, v15
	v_mul_u32_u24_e32 v14, 0xa3e, v16
	v_dual_mov_b32 v0, v3 :: v_dual_and_b32 v15, 0xff, v0
	s_delay_alu instid0(VALU_DEP_2) | instskip(NEXT) | instid1(VALU_DEP_2)
	v_lshrrev_b32_e32 v21, 16, v14
	v_cndmask_b32_e64 v1, v1, v15, s0
	s_mul_hi_u32 s0, s14, 0xc8
	s_delay_alu instid0(VALU_DEP_1) | instskip(SKIP_2) | instid1(VALU_DEP_1)
	v_mad_u64_u32 v[14:15], null, 0xc8, s7, v[0:1]
	v_lshlrev_b32_e32 v0, 4, v1
	v_add_co_u32 v1, s3, s6, v21
	v_add_co_ci_u32_e64 v3, null, s7, 0, s3
	s_delay_alu instid0(VALU_DEP_4)
	v_mov_b32_e32 v16, v14
	s_waitcnt lgkmcnt(0)
	v_add_co_u32 v14, s3, s10, v0
	v_sub_co_u32 v0, vcc_lo, v1, s14
	v_subrev_co_ci_u32_e32 v1, vcc_lo, 0, v3, vcc_lo
	v_sub_co_u32 v17, vcc_lo, v2, s1
	v_subrev_co_ci_u32_e32 v18, vcc_lo, s0, v16, vcc_lo
	s_delay_alu instid0(VALU_DEP_3)
	v_lshlrev_b64 v[0:1], 3, v[0:1]
	v_mov_b32_e32 v2, 0
	v_mov_b32_e32 v3, 0
	v_add_co_u32 v16, vcc_lo, s18, v17
	v_add_co_ci_u32_e32 v17, vcc_lo, s19, v18, vcc_lo
	v_add_co_u32 v18, vcc_lo, s16, v0
	v_add_co_ci_u32_e64 v15, null, s11, 0, s3
	v_add_co_ci_u32_e32 v19, vcc_lo, s17, v1, vcc_lo
	v_dual_mov_b32 v0, v2 :: v_dual_mov_b32 v1, v3
	s_subb_u32 s3, s9, 0
	s_sub_u32 s0, s6, s14
	s_subb_u32 s1, s7, 0
	s_set_inst_prefetch_distance 0x1
	s_branch .LBB35_15
	.p2align	6
.LBB35_14:                              ;   in Loop: Header=BB35_15 Depth=1
	s_or_b32 exec_lo, exec_lo, s6
	s_add_u32 s0, s0, 2
	s_addc_u32 s1, s1, 0
	v_add_co_u32 v16, vcc_lo, 0x190, v16
	v_cmp_ge_i64_e64 s6, s[0:1], s[2:3]
	v_add_co_ci_u32_e32 v17, vcc_lo, 0, v17, vcc_lo
	v_add_co_u32 v18, vcc_lo, v18, 16
	v_add_co_ci_u32_e32 v19, vcc_lo, 0, v19, vcc_lo
	s_delay_alu instid0(VALU_DEP_4)
	s_and_b32 vcc_lo, exec_lo, s6
	s_cbranch_vccnz .LBB35_17
.LBB35_15:                              ; =>This Inner Loop Header: Depth=1
	v_add_co_u32 v22, s6, v21, s0
	s_delay_alu instid0(VALU_DEP_1) | instskip(SKIP_1) | instid1(VALU_DEP_1)
	v_add_co_ci_u32_e64 v23, null, 0, s1, s6
	s_mov_b32 s6, exec_lo
	v_cmpx_gt_i64_e64 s[2:3], v[22:23]
	s_cbranch_execz .LBB35_14
; %bb.16:                               ;   in Loop: Header=BB35_15 Depth=1
	global_load_b64 v[22:23], v[18:19], off
	s_waitcnt vmcnt(0)
	v_sub_co_u32 v24, vcc_lo, v22, s14
	v_subrev_co_ci_u32_e32 v26, vcc_lo, 0, v23, vcc_lo
	s_delay_alu instid0(VALU_DEP_2) | instskip(NEXT) | instid1(VALU_DEP_1)
	v_mad_u64_u32 v[22:23], null, 0x50, v24, v[14:15]
	v_mad_u64_u32 v[24:25], null, 0x50, v26, v[23:24]
	s_delay_alu instid0(VALU_DEP_1)
	v_mov_b32_e32 v23, v24
	global_load_b64 v[26:27], v[16:17], off
	global_load_b128 v[22:25], v[22:23], off
	s_waitcnt vmcnt(0)
	v_fma_f64 v[0:1], v[26:27], v[22:23], v[0:1]
	v_fma_f64 v[2:3], v[22:23], 0, v[2:3]
	s_delay_alu instid0(VALU_DEP_2) | instskip(NEXT) | instid1(VALU_DEP_2)
	v_fma_f64 v[0:1], 0x80000000, v[24:25], v[0:1]
	v_fma_f64 v[2:3], v[26:27], v[24:25], v[2:3]
	s_branch .LBB35_14
.LBB35_17:
	s_set_inst_prefetch_distance 0x2
	v_lshlrev_b32_e32 v18, 4, v6
	s_and_b32 vcc_lo, exec_lo, s15
	ds_store_b128 v18, v[0:3]
	s_waitcnt vmcnt(0) lgkmcnt(0)
	buffer_gl0_inv
	s_cbranch_vccz .LBB35_27
; %bb.18:
	s_mov_b32 s0, exec_lo
	v_cmpx_gt_u32_e32 25, v6
	s_cbranch_execz .LBB35_20
; %bb.19:
	ds_load_b128 v[14:17], v18 offset:400
	ds_load_b128 v[21:24], v18
	s_waitcnt lgkmcnt(0)
	v_add_f64 v[14:15], v[14:15], v[21:22]
	v_add_f64 v[16:17], v[16:17], v[23:24]
	ds_store_b128 v18, v[14:17]
.LBB35_20:
	s_or_b32 exec_lo, exec_lo, s0
	s_delay_alu instid0(SALU_CYCLE_1)
	s_mov_b32 s0, exec_lo
	s_waitcnt lgkmcnt(0)
	buffer_gl0_inv
	v_cmpx_eq_u16_e32 0, v20
	s_cbranch_execz .LBB35_22
; %bb.21:
	ds_load_b128 v[14:17], v18 offset:64
	ds_load_b128 v[21:24], v18
	s_waitcnt lgkmcnt(0)
	v_add_f64 v[14:15], v[14:15], v[21:22]
	v_add_f64 v[16:17], v[16:17], v[23:24]
	ds_store_b128 v18, v[14:17]
.LBB35_22:
	s_or_b32 exec_lo, exec_lo, s0
	s_delay_alu instid0(SALU_CYCLE_1)
	s_mov_b32 s0, exec_lo
	s_waitcnt lgkmcnt(0)
	buffer_gl0_inv
	v_cmpx_gt_u16_e32 2, v20
	s_cbranch_execz .LBB35_24
; %bb.23:
	ds_load_b128 v[14:17], v18
	ds_load_b128 v[19:22], v18 offset:32
	s_waitcnt lgkmcnt(0)
	v_add_f64 v[14:15], v[19:20], v[14:15]
	v_add_f64 v[16:17], v[21:22], v[16:17]
	ds_store_b128 v18, v[14:17]
.LBB35_24:
	s_or_b32 exec_lo, exec_lo, s0
	v_dual_mov_b32 v17, v3 :: v_dual_mov_b32 v16, v2
	v_dual_mov_b32 v15, v1 :: v_dual_mov_b32 v14, v0
	s_mov_b32 s0, exec_lo
	s_waitcnt lgkmcnt(0)
	buffer_gl0_inv
	v_cmpx_gt_u32_e32 5, v6
	s_cbranch_execz .LBB35_26
; %bb.25:
	v_lshl_add_u32 v19, v6, 6, v18
	ds_load_b128 v[14:17], v19
	ds_load_b128 v[19:22], v19 offset:16
	s_waitcnt lgkmcnt(0)
	v_add_f64 v[14:15], v[19:20], v[14:15]
	v_add_f64 v[16:17], v[21:22], v[16:17]
.LBB35_26:
	s_or_b32 exec_lo, exec_lo, s0
	s_branch .LBB35_37
.LBB35_27:
                                        ; implicit-def: $vgpr16_vgpr17
                                        ; implicit-def: $vgpr14_vgpr15
	s_cbranch_execz .LBB35_37
; %bb.28:
	v_cmp_gt_u32_e32 vcc_lo, 10, v6
	s_and_saveexec_b32 s0, vcc_lo
	s_cbranch_execz .LBB35_30
; %bb.29:
	ds_load_b128 v[14:17], v18 offset:640
	ds_load_b128 v[19:22], v18
	s_waitcnt lgkmcnt(0)
	v_add_f64 v[14:15], v[14:15], v[19:20]
	v_add_f64 v[16:17], v[16:17], v[21:22]
	ds_store_b128 v18, v[14:17]
.LBB35_30:
	s_or_b32 exec_lo, exec_lo, s0
	s_delay_alu instid0(SALU_CYCLE_1)
	s_mov_b32 s1, exec_lo
	s_waitcnt lgkmcnt(0)
	buffer_gl0_inv
	v_cmpx_gt_u32_e32 20, v6
	s_cbranch_execz .LBB35_32
; %bb.31:
	ds_load_b128 v[14:17], v18 offset:320
	ds_load_b128 v[19:22], v18
	s_waitcnt lgkmcnt(0)
	v_add_f64 v[14:15], v[14:15], v[19:20]
	v_add_f64 v[16:17], v[16:17], v[21:22]
	ds_store_b128 v18, v[14:17]
.LBB35_32:
	s_or_b32 exec_lo, exec_lo, s1
	s_waitcnt lgkmcnt(0)
	buffer_gl0_inv
	s_and_saveexec_b32 s0, vcc_lo
	s_cbranch_execz .LBB35_34
; %bb.33:
	ds_load_b128 v[14:17], v18 offset:160
	ds_load_b128 v[19:22], v18
	s_waitcnt lgkmcnt(0)
	v_add_f64 v[14:15], v[14:15], v[19:20]
	v_add_f64 v[16:17], v[16:17], v[21:22]
	ds_store_b128 v18, v[14:17]
.LBB35_34:
	s_or_b32 exec_lo, exec_lo, s0
	s_delay_alu instid0(SALU_CYCLE_1)
	s_mov_b32 s0, exec_lo
	s_waitcnt lgkmcnt(0)
	buffer_gl0_inv
	v_cmpx_gt_u32_e32 5, v6
	s_cbranch_execz .LBB35_36
; %bb.35:
	ds_load_b128 v[0:3], v18 offset:80
	ds_load_b128 v[14:17], v18
	s_waitcnt lgkmcnt(0)
	v_add_f64 v[0:1], v[0:1], v[14:15]
	v_add_f64 v[2:3], v[2:3], v[16:17]
.LBB35_36:
	s_or_b32 exec_lo, exec_lo, s0
	s_delay_alu instid0(VALU_DEP_1) | instskip(NEXT) | instid1(VALU_DEP_3)
	v_dual_mov_b32 v17, v3 :: v_dual_mov_b32 v16, v2
	v_dual_mov_b32 v15, v1 :: v_dual_mov_b32 v14, v0
.LBB35_37:
	v_cmp_gt_u32_e32 vcc_lo, 5, v6
	s_and_b32 exec_lo, exec_lo, vcc_lo
	s_cbranch_execz .LBB35_42
; %bb.38:
	s_delay_alu instid0(VALU_DEP_2)
	v_mul_f64 v[0:1], v[16:17], -v[12:13]
	v_mul_f64 v[2:3], v[10:11], v[16:17]
	v_cmp_eq_f64_e32 vcc_lo, 0, v[4:5]
	v_cmp_eq_f64_e64 s0, 0, v[8:9]
	v_lshlrev_b64 v[6:7], 4, v[6:7]
	s_mul_hi_u32 s1, s12, 0x50
	s_mul_i32 s2, s12, 0x50
	v_fma_f64 v[0:1], v[10:11], v[14:15], v[0:1]
	v_fma_f64 v[2:3], v[12:13], v[14:15], v[2:3]
	s_delay_alu instid0(VALU_DEP_4) | instskip(SKIP_2) | instid1(SALU_CYCLE_1)
	s_and_b32 s3, vcc_lo, s0
	s_mul_i32 s0, s13, 0x50
	s_and_saveexec_b32 s6, s3
	s_xor_b32 s3, exec_lo, s6
	s_cbranch_execz .LBB35_40
; %bb.39:
	s_add_i32 s6, s1, s0
	s_add_u32 s7, s4, s2
	s_addc_u32 s6, s5, s6
	v_add_co_u32 v4, vcc_lo, s7, v6
	v_add_co_ci_u32_e32 v5, vcc_lo, s6, v7, vcc_lo
                                        ; implicit-def: $vgpr6_vgpr7
                                        ; implicit-def: $vgpr8_vgpr9
	global_store_b128 v[4:5], v[0:3], off
                                        ; implicit-def: $vgpr4_vgpr5
                                        ; implicit-def: $vgpr0_vgpr1
.LBB35_40:
	s_and_not1_saveexec_b32 s3, s3
	s_cbranch_execz .LBB35_42
; %bb.41:
	s_add_i32 s1, s1, s0
	s_add_u32 s0, s4, s2
	s_addc_u32 s1, s5, s1
	v_add_co_u32 v6, vcc_lo, s0, v6
	v_add_co_ci_u32_e32 v7, vcc_lo, s1, v7, vcc_lo
	global_load_b128 v[10:13], v[6:7], off
	s_waitcnt vmcnt(0)
	v_fma_f64 v[0:1], v[4:5], v[10:11], v[0:1]
	v_fma_f64 v[2:3], v[8:9], v[10:11], v[2:3]
	s_delay_alu instid0(VALU_DEP_2) | instskip(NEXT) | instid1(VALU_DEP_2)
	v_fma_f64 v[0:1], -v[8:9], v[12:13], v[0:1]
	v_fma_f64 v[2:3], v[4:5], v[12:13], v[2:3]
	global_store_b128 v[6:7], v[0:3], off
.LBB35_42:
	s_nop 0
	s_sendmsg sendmsg(MSG_DEALLOC_VGPRS)
	s_endpgm
	.section	.rodata,"a",@progbits
	.p2align	6, 0x0
	.amdhsa_kernel _ZN9rocsparseL18bsrxmvn_5x5_kernelILj50E21rocsparse_complex_numIdElldS2_S2_EEvT2_20rocsparse_direction_NS_24const_host_device_scalarIT0_EES3_PKS3_PKT1_SC_S9_PKT3_PKT4_S7_PT5_21rocsparse_index_base_b
		.amdhsa_group_segment_fixed_size 1600
		.amdhsa_private_segment_fixed_size 0
		.amdhsa_kernarg_size 120
		.amdhsa_user_sgpr_count 15
		.amdhsa_user_sgpr_dispatch_ptr 1
		.amdhsa_user_sgpr_queue_ptr 0
		.amdhsa_user_sgpr_kernarg_segment_ptr 1
		.amdhsa_user_sgpr_dispatch_id 0
		.amdhsa_user_sgpr_private_segment_size 0
		.amdhsa_wavefront_size32 1
		.amdhsa_uses_dynamic_stack 0
		.amdhsa_enable_private_segment 0
		.amdhsa_system_sgpr_workgroup_id_x 1
		.amdhsa_system_sgpr_workgroup_id_y 0
		.amdhsa_system_sgpr_workgroup_id_z 0
		.amdhsa_system_sgpr_workgroup_info 0
		.amdhsa_system_vgpr_workitem_id 2
		.amdhsa_next_free_vgpr 28
		.amdhsa_next_free_sgpr 20
		.amdhsa_reserve_vcc 1
		.amdhsa_float_round_mode_32 0
		.amdhsa_float_round_mode_16_64 0
		.amdhsa_float_denorm_mode_32 3
		.amdhsa_float_denorm_mode_16_64 3
		.amdhsa_dx10_clamp 1
		.amdhsa_ieee_mode 1
		.amdhsa_fp16_overflow 0
		.amdhsa_workgroup_processor_mode 1
		.amdhsa_memory_ordered 1
		.amdhsa_forward_progress 0
		.amdhsa_shared_vgpr_count 0
		.amdhsa_exception_fp_ieee_invalid_op 0
		.amdhsa_exception_fp_denorm_src 0
		.amdhsa_exception_fp_ieee_div_zero 0
		.amdhsa_exception_fp_ieee_overflow 0
		.amdhsa_exception_fp_ieee_underflow 0
		.amdhsa_exception_fp_ieee_inexact 0
		.amdhsa_exception_int_div_zero 0
	.end_amdhsa_kernel
	.section	.text._ZN9rocsparseL18bsrxmvn_5x5_kernelILj50E21rocsparse_complex_numIdElldS2_S2_EEvT2_20rocsparse_direction_NS_24const_host_device_scalarIT0_EES3_PKS3_PKT1_SC_S9_PKT3_PKT4_S7_PT5_21rocsparse_index_base_b,"axG",@progbits,_ZN9rocsparseL18bsrxmvn_5x5_kernelILj50E21rocsparse_complex_numIdElldS2_S2_EEvT2_20rocsparse_direction_NS_24const_host_device_scalarIT0_EES3_PKS3_PKT1_SC_S9_PKT3_PKT4_S7_PT5_21rocsparse_index_base_b,comdat
.Lfunc_end35:
	.size	_ZN9rocsparseL18bsrxmvn_5x5_kernelILj50E21rocsparse_complex_numIdElldS2_S2_EEvT2_20rocsparse_direction_NS_24const_host_device_scalarIT0_EES3_PKS3_PKT1_SC_S9_PKT3_PKT4_S7_PT5_21rocsparse_index_base_b, .Lfunc_end35-_ZN9rocsparseL18bsrxmvn_5x5_kernelILj50E21rocsparse_complex_numIdElldS2_S2_EEvT2_20rocsparse_direction_NS_24const_host_device_scalarIT0_EES3_PKS3_PKT1_SC_S9_PKT3_PKT4_S7_PT5_21rocsparse_index_base_b
                                        ; -- End function
	.section	.AMDGPU.csdata,"",@progbits
; Kernel info:
; codeLenInByte = 2028
; NumSgprs: 22
; NumVgprs: 28
; ScratchSize: 0
; MemoryBound: 1
; FloatMode: 240
; IeeeMode: 1
; LDSByteSize: 1600 bytes/workgroup (compile time only)
; SGPRBlocks: 2
; VGPRBlocks: 3
; NumSGPRsForWavesPerEU: 22
; NumVGPRsForWavesPerEU: 28
; Occupancy: 16
; WaveLimiterHint : 1
; COMPUTE_PGM_RSRC2:SCRATCH_EN: 0
; COMPUTE_PGM_RSRC2:USER_SGPR: 15
; COMPUTE_PGM_RSRC2:TRAP_HANDLER: 0
; COMPUTE_PGM_RSRC2:TGID_X_EN: 1
; COMPUTE_PGM_RSRC2:TGID_Y_EN: 0
; COMPUTE_PGM_RSRC2:TGID_Z_EN: 0
; COMPUTE_PGM_RSRC2:TIDIG_COMP_CNT: 2
	.section	.text._ZN9rocsparseL18bsrxmvn_5x5_kernelILj50EdiifddEEvT2_20rocsparse_direction_NS_24const_host_device_scalarIT0_EES1_PKS1_PKT1_SA_S7_PKT3_PKT4_S5_PT5_21rocsparse_index_base_b,"axG",@progbits,_ZN9rocsparseL18bsrxmvn_5x5_kernelILj50EdiifddEEvT2_20rocsparse_direction_NS_24const_host_device_scalarIT0_EES1_PKS1_PKT1_SA_S7_PKT3_PKT4_S5_PT5_21rocsparse_index_base_b,comdat
	.globl	_ZN9rocsparseL18bsrxmvn_5x5_kernelILj50EdiifddEEvT2_20rocsparse_direction_NS_24const_host_device_scalarIT0_EES1_PKS1_PKT1_SA_S7_PKT3_PKT4_S5_PT5_21rocsparse_index_base_b ; -- Begin function _ZN9rocsparseL18bsrxmvn_5x5_kernelILj50EdiifddEEvT2_20rocsparse_direction_NS_24const_host_device_scalarIT0_EES1_PKS1_PKT1_SA_S7_PKT3_PKT4_S5_PT5_21rocsparse_index_base_b
	.p2align	8
	.type	_ZN9rocsparseL18bsrxmvn_5x5_kernelILj50EdiifddEEvT2_20rocsparse_direction_NS_24const_host_device_scalarIT0_EES1_PKS1_PKT1_SA_S7_PKT3_PKT4_S5_PT5_21rocsparse_index_base_b,@function
_ZN9rocsparseL18bsrxmvn_5x5_kernelILj50EdiifddEEvT2_20rocsparse_direction_NS_24const_host_device_scalarIT0_EES1_PKS1_PKT1_SA_S7_PKT3_PKT4_S5_PT5_21rocsparse_index_base_b: ; @_ZN9rocsparseL18bsrxmvn_5x5_kernelILj50EdiifddEEvT2_20rocsparse_direction_NS_24const_host_device_scalarIT0_EES1_PKS1_PKT1_SA_S7_PKT3_PKT4_S5_PT5_21rocsparse_index_base_b
; %bb.0:
	s_clause 0x2
	s_load_b64 s[10:11], s[0:1], 0x58
	s_load_b64 s[4:5], s[0:1], 0x8
	;; [unrolled: 1-line block ×3, first 2 shown]
	s_mov_b32 s8, s15
	s_waitcnt lgkmcnt(0)
	s_bitcmp1_b32 s11, 0
	v_dual_mov_b32 v3, s4 :: v_dual_mov_b32 v4, s5
	s_cselect_b32 s6, -1, 0
	s_delay_alu instid0(SALU_CYCLE_1)
	s_and_b32 vcc_lo, exec_lo, s6
	s_xor_b32 s6, s6, -1
	s_cbranch_vccnz .LBB36_2
; %bb.1:
	v_dual_mov_b32 v1, s4 :: v_dual_mov_b32 v2, s5
	flat_load_b64 v[3:4], v[1:2]
.LBB36_2:
	v_dual_mov_b32 v1, s2 :: v_dual_mov_b32 v2, s3
	s_and_not1_b32 vcc_lo, exec_lo, s6
	s_cbranch_vccnz .LBB36_4
; %bb.3:
	v_dual_mov_b32 v1, s2 :: v_dual_mov_b32 v2, s3
	flat_load_b64 v[1:2], v[1:2]
.LBB36_4:
	s_waitcnt vmcnt(0) lgkmcnt(0)
	v_cmp_neq_f64_e32 vcc_lo, 0, v[3:4]
	v_cmp_neq_f64_e64 s2, 1.0, v[1:2]
	s_delay_alu instid0(VALU_DEP_1) | instskip(NEXT) | instid1(SALU_CYCLE_1)
	s_or_b32 s2, vcc_lo, s2
	s_and_saveexec_b32 s3, s2
	s_cbranch_execz .LBB36_34
; %bb.5:
	s_clause 0x1
	s_load_b128 s[4:7], s[0:1], 0x18
	s_load_b64 s[2:3], s[0:1], 0x28
	s_waitcnt lgkmcnt(0)
	s_cmp_eq_u64 s[4:5], 0
	s_cbranch_scc1 .LBB36_7
; %bb.6:
	s_ashr_i32 s9, s8, 31
	s_delay_alu instid0(SALU_CYCLE_1) | instskip(NEXT) | instid1(SALU_CYCLE_1)
	s_lshl_b64 s[8:9], s[8:9], 2
	s_add_u32 s4, s4, s8
	s_addc_u32 s5, s5, s9
	s_load_b32 s4, s[4:5], 0x0
	s_waitcnt lgkmcnt(0)
	s_sub_i32 s8, s4, s10
.LBB36_7:
	s_load_b32 s4, s[0:1], 0x4
	v_mul_u32_u24_e32 v5, 0x3334, v0
	s_delay_alu instid0(VALU_DEP_1) | instskip(SKIP_2) | instid1(VALU_DEP_3)
	v_lshrrev_b32_e32 v7, 16, v5
	v_mov_b32_e32 v5, 0
	v_mov_b32_e32 v6, 0
	v_mul_lo_u16 v8, v7, 5
	s_delay_alu instid0(VALU_DEP_1)
	v_sub_nc_u16 v12, v0, v8
	s_waitcnt lgkmcnt(0)
	s_cmp_eq_u32 s4, 1
	s_cselect_b32 vcc_lo, -1, 0
	s_cmp_lg_u32 s4, 1
	s_cselect_b32 s11, -1, 0
	s_ashr_i32 s9, s8, 31
	s_delay_alu instid0(SALU_CYCLE_1) | instskip(NEXT) | instid1(SALU_CYCLE_1)
	s_lshl_b64 s[4:5], s[8:9], 2
	s_add_u32 s6, s6, s4
	s_addc_u32 s7, s7, s5
	s_add_u32 s9, s6, 4
	s_addc_u32 s12, s7, 0
	;; [unrolled: 2-line block ×3, first 2 shown]
	s_cmp_eq_u64 s[2:3], 0
	s_cselect_b32 s3, s12, s5
	s_cselect_b32 s2, s9, s4
	s_load_b32 s12, s[6:7], 0x0
	s_load_b32 s9, s[2:3], 0x0
	s_load_b64 s[2:3], s[0:1], 0x50
	s_waitcnt lgkmcnt(0)
	s_cmp_ge_i32 s12, s9
	s_cbranch_scc1 .LBB36_12
; %bb.8:
	v_mul_lo_u16 v5, v7, 52
	s_clause 0x1
	s_load_b128 s[4:7], s[0:1], 0x30
	s_load_b64 s[0:1], s[0:1], 0x40
	s_mul_i32 s13, s10, 25
	s_sub_i32 s9, s9, s10
	v_lshrrev_b16 v5, 8, v5
	s_delay_alu instid0(VALU_DEP_1) | instskip(NEXT) | instid1(VALU_DEP_1)
	v_mul_lo_u16 v5, v5, 5
	v_sub_nc_u16 v5, v7, v5
	v_mad_u64_u32 v[7:8], null, s12, 25, v[0:1]
	v_and_b32_e32 v8, 0xffff, v12
	s_sub_i32 s12, s12, s10
	s_delay_alu instid0(VALU_DEP_3) | instskip(SKIP_1) | instid1(VALU_DEP_4)
	v_and_b32_e32 v10, 0xff, v5
	v_and_b32_e32 v6, 0xffff, v0
	v_subrev_nc_u32_e32 v7, s13, v7
	s_delay_alu instid0(VALU_DEP_2) | instskip(SKIP_2) | instid1(VALU_DEP_3)
	v_mul_u32_u24_e32 v9, 0xa3e, v6
	v_mov_b32_e32 v5, 0
	v_mov_b32_e32 v6, 0
	v_lshrrev_b32_e32 v13, 16, v9
	v_dual_cndmask_b32 v9, v8, v10 :: v_dual_mov_b32 v8, 0
	s_set_inst_prefetch_distance 0x1
	s_branch .LBB36_10
	.p2align	6
.LBB36_9:                               ;   in Loop: Header=BB36_10 Depth=1
	s_or_b32 exec_lo, exec_lo, s13
	v_add_nc_u32_e32 v7, 50, v7
	s_add_i32 s12, s12, 2
	s_delay_alu instid0(SALU_CYCLE_1)
	s_cmp_ge_i32 s12, s9
	s_cbranch_scc1 .LBB36_12
.LBB36_10:                              ; =>This Inner Loop Header: Depth=1
	s_delay_alu instid0(VALU_DEP_2) | instskip(SKIP_1) | instid1(VALU_DEP_1)
	v_add_nc_u32_e32 v10, s12, v13
	s_mov_b32 s13, exec_lo
	v_cmpx_gt_i32_e64 s9, v10
	s_cbranch_execz .LBB36_9
; %bb.11:                               ;   in Loop: Header=BB36_10 Depth=1
	v_ashrrev_i32_e32 v11, 31, v10
	s_delay_alu instid0(VALU_DEP_1) | instskip(SKIP_1) | instid1(VALU_DEP_1)
	v_lshlrev_b64 v[10:11], 2, v[10:11]
	s_waitcnt lgkmcnt(0)
	v_add_co_u32 v10, vcc_lo, s4, v10
	s_delay_alu instid0(VALU_DEP_2) | instskip(SKIP_2) | instid1(VALU_DEP_1)
	v_add_co_ci_u32_e32 v11, vcc_lo, s5, v11, vcc_lo
	global_load_b32 v14, v[10:11], off
	v_lshlrev_b64 v[10:11], 2, v[7:8]
	v_add_co_u32 v10, vcc_lo, s6, v10
	s_delay_alu instid0(VALU_DEP_2) | instskip(SKIP_3) | instid1(VALU_DEP_1)
	v_add_co_ci_u32_e32 v11, vcc_lo, s7, v11, vcc_lo
	global_load_b32 v15, v[10:11], off
	s_waitcnt vmcnt(1)
	v_subrev_nc_u32_e32 v14, s10, v14
	v_mad_u64_u32 v[10:11], null, v14, 5, v[9:10]
	s_delay_alu instid0(VALU_DEP_1) | instskip(SKIP_2) | instid1(VALU_DEP_2)
	v_ashrrev_i32_e32 v11, 31, v10
	s_waitcnt vmcnt(0)
	v_cvt_f64_f32_e32 v[14:15], v15
	v_lshlrev_b64 v[10:11], 3, v[10:11]
	s_delay_alu instid0(VALU_DEP_1) | instskip(NEXT) | instid1(VALU_DEP_2)
	v_add_co_u32 v10, vcc_lo, s0, v10
	v_add_co_ci_u32_e32 v11, vcc_lo, s1, v11, vcc_lo
	global_load_b64 v[10:11], v[10:11], off
	s_waitcnt vmcnt(0)
	v_fma_f64 v[5:6], v[14:15], v[10:11], v[5:6]
	s_branch .LBB36_9
.LBB36_12:
	s_set_inst_prefetch_distance 0x2
	v_lshlrev_b32_e32 v7, 3, v0
	s_and_b32 vcc_lo, exec_lo, s11
	ds_store_b64 v7, v[5:6]
	s_waitcnt lgkmcnt(0)
	buffer_gl0_inv
	s_cbranch_vccz .LBB36_22
; %bb.13:
	s_mov_b32 s0, exec_lo
	v_cmpx_gt_u32_e32 25, v0
	s_cbranch_execz .LBB36_15
; %bb.14:
	ds_load_2addr_b64 v[8:11], v7 offset1:25
	s_waitcnt lgkmcnt(0)
	v_add_f64 v[8:9], v[10:11], v[8:9]
	ds_store_b64 v7, v[8:9]
.LBB36_15:
	s_or_b32 exec_lo, exec_lo, s0
	s_delay_alu instid0(SALU_CYCLE_1)
	s_mov_b32 s0, exec_lo
	s_waitcnt lgkmcnt(0)
	buffer_gl0_inv
	v_cmpx_eq_u16_e32 0, v12
	s_cbranch_execz .LBB36_17
; %bb.16:
	ds_load_2addr_b64 v[8:11], v7 offset1:4
	s_waitcnt lgkmcnt(0)
	v_add_f64 v[8:9], v[10:11], v[8:9]
	ds_store_b64 v7, v[8:9]
.LBB36_17:
	s_or_b32 exec_lo, exec_lo, s0
	s_delay_alu instid0(SALU_CYCLE_1)
	s_mov_b32 s0, exec_lo
	s_waitcnt lgkmcnt(0)
	buffer_gl0_inv
	v_cmpx_gt_u16_e32 2, v12
	s_cbranch_execz .LBB36_19
; %bb.18:
	ds_load_2addr_b64 v[8:11], v7 offset1:2
	s_waitcnt lgkmcnt(0)
	v_add_f64 v[8:9], v[10:11], v[8:9]
	ds_store_b64 v7, v[8:9]
.LBB36_19:
	s_or_b32 exec_lo, exec_lo, s0
	s_mov_b32 s0, 0
	s_mov_b32 s1, 0
	s_mov_b32 s4, exec_lo
	s_waitcnt lgkmcnt(0)
	buffer_gl0_inv
                                        ; implicit-def: $vgpr8
                                        ; implicit-def: $vgpr9
	v_cmpx_gt_u32_e32 5, v0
	s_xor_b32 s4, exec_lo, s4
; %bb.20:
	v_mad_u32_u24 v8, v0, 5, 1
	v_lshl_add_u32 v9, v0, 5, v7
	s_mov_b32 s1, exec_lo
; %bb.21:
	s_or_b32 exec_lo, exec_lo, s4
	s_delay_alu instid0(SALU_CYCLE_1)
	s_and_b32 vcc_lo, exec_lo, s0
	s_cbranch_vccnz .LBB36_23
	s_branch .LBB36_32
.LBB36_22:
	s_mov_b32 s1, 0
                                        ; implicit-def: $vgpr8
                                        ; implicit-def: $vgpr9
	s_cbranch_execz .LBB36_32
.LBB36_23:
	v_cmp_gt_u32_e32 vcc_lo, 10, v0
	s_and_saveexec_b32 s0, vcc_lo
	s_cbranch_execz .LBB36_25
; %bb.24:
	ds_load_2addr_b64 v[8:11], v7 offset1:40
	s_waitcnt lgkmcnt(0)
	v_add_f64 v[8:9], v[10:11], v[8:9]
	ds_store_b64 v7, v[8:9]
.LBB36_25:
	s_or_b32 exec_lo, exec_lo, s0
	s_delay_alu instid0(SALU_CYCLE_1)
	s_mov_b32 s4, exec_lo
	s_waitcnt lgkmcnt(0)
	buffer_gl0_inv
	v_cmpx_gt_u32_e32 20, v0
	s_cbranch_execz .LBB36_27
; %bb.26:
	ds_load_2addr_b64 v[8:11], v7 offset1:20
	s_waitcnt lgkmcnt(0)
	v_add_f64 v[8:9], v[10:11], v[8:9]
	ds_store_b64 v7, v[8:9]
.LBB36_27:
	s_or_b32 exec_lo, exec_lo, s4
	s_waitcnt lgkmcnt(0)
	buffer_gl0_inv
	s_and_saveexec_b32 s0, vcc_lo
	s_cbranch_execz .LBB36_29
; %bb.28:
	ds_load_2addr_b64 v[8:11], v7 offset1:10
	s_waitcnt lgkmcnt(0)
	v_add_f64 v[8:9], v[10:11], v[8:9]
	ds_store_b64 v7, v[8:9]
.LBB36_29:
	s_or_b32 exec_lo, exec_lo, s0
	s_delay_alu instid0(SALU_CYCLE_1)
	s_mov_b32 s0, exec_lo
	s_waitcnt lgkmcnt(0)
	buffer_gl0_inv
                                        ; implicit-def: $vgpr8
	v_cmpx_gt_u32_e32 5, v0
; %bb.30:
	v_add_nc_u32_e32 v8, 5, v0
	s_or_b32 s1, s1, exec_lo
                                        ; implicit-def: $vgpr5_vgpr6
; %bb.31:
	s_or_b32 exec_lo, exec_lo, s0
	v_mov_b32_e32 v9, v7
.LBB36_32:
	s_and_saveexec_b32 s0, s1
	s_cbranch_execnz .LBB36_35
; %bb.33:
	s_or_b32 exec_lo, exec_lo, s0
	v_cmp_gt_u32_e32 vcc_lo, 5, v0
	s_and_b32 exec_lo, exec_lo, vcc_lo
	s_cbranch_execnz .LBB36_36
.LBB36_34:
	s_nop 0
	s_sendmsg sendmsg(MSG_DEALLOC_VGPRS)
	s_endpgm
.LBB36_35:
	v_lshlrev_b32_e32 v7, 3, v8
	ds_load_b64 v[5:6], v9
	ds_load_b64 v[7:8], v7
	s_waitcnt lgkmcnt(0)
	v_add_f64 v[5:6], v[5:6], v[7:8]
	s_or_b32 exec_lo, exec_lo, s0
	v_cmp_gt_u32_e32 vcc_lo, 5, v0
	s_and_b32 exec_lo, exec_lo, vcc_lo
	s_cbranch_execz .LBB36_34
.LBB36_36:
	s_delay_alu instid0(VALU_DEP_2)
	v_mul_f64 v[3:4], v[3:4], v[5:6]
	s_mov_b32 s0, exec_lo
	v_cmpx_eq_f64_e32 0, v[1:2]
	s_xor_b32 s0, exec_lo, s0
	s_cbranch_execz .LBB36_38
; %bb.37:
	v_mad_u64_u32 v[1:2], null, s8, 5, v[0:1]
	v_mov_b32_e32 v2, 0
	s_delay_alu instid0(VALU_DEP_1) | instskip(NEXT) | instid1(VALU_DEP_1)
	v_lshlrev_b64 v[0:1], 3, v[1:2]
	v_add_co_u32 v0, vcc_lo, s2, v0
	s_delay_alu instid0(VALU_DEP_2)
	v_add_co_ci_u32_e32 v1, vcc_lo, s3, v1, vcc_lo
	global_store_b64 v[0:1], v[3:4], off
                                        ; implicit-def: $vgpr0
                                        ; implicit-def: $vgpr1_vgpr2
                                        ; implicit-def: $vgpr3_vgpr4
.LBB36_38:
	s_and_not1_saveexec_b32 s0, s0
	s_cbranch_execz .LBB36_34
; %bb.39:
	v_mad_u64_u32 v[5:6], null, s8, 5, v[0:1]
	v_mov_b32_e32 v6, 0
	s_delay_alu instid0(VALU_DEP_1) | instskip(NEXT) | instid1(VALU_DEP_1)
	v_lshlrev_b64 v[5:6], 3, v[5:6]
	v_add_co_u32 v5, vcc_lo, s2, v5
	s_delay_alu instid0(VALU_DEP_2)
	v_add_co_ci_u32_e32 v6, vcc_lo, s3, v6, vcc_lo
	global_load_b64 v[7:8], v[5:6], off
	s_waitcnt vmcnt(0)
	v_fma_f64 v[0:1], v[1:2], v[7:8], v[3:4]
	global_store_b64 v[5:6], v[0:1], off
	s_nop 0
	s_sendmsg sendmsg(MSG_DEALLOC_VGPRS)
	s_endpgm
	.section	.rodata,"a",@progbits
	.p2align	6, 0x0
	.amdhsa_kernel _ZN9rocsparseL18bsrxmvn_5x5_kernelILj50EdiifddEEvT2_20rocsparse_direction_NS_24const_host_device_scalarIT0_EES1_PKS1_PKT1_SA_S7_PKT3_PKT4_S5_PT5_21rocsparse_index_base_b
		.amdhsa_group_segment_fixed_size 400
		.amdhsa_private_segment_fixed_size 0
		.amdhsa_kernarg_size 96
		.amdhsa_user_sgpr_count 15
		.amdhsa_user_sgpr_dispatch_ptr 0
		.amdhsa_user_sgpr_queue_ptr 0
		.amdhsa_user_sgpr_kernarg_segment_ptr 1
		.amdhsa_user_sgpr_dispatch_id 0
		.amdhsa_user_sgpr_private_segment_size 0
		.amdhsa_wavefront_size32 1
		.amdhsa_uses_dynamic_stack 0
		.amdhsa_enable_private_segment 0
		.amdhsa_system_sgpr_workgroup_id_x 1
		.amdhsa_system_sgpr_workgroup_id_y 0
		.amdhsa_system_sgpr_workgroup_id_z 0
		.amdhsa_system_sgpr_workgroup_info 0
		.amdhsa_system_vgpr_workitem_id 0
		.amdhsa_next_free_vgpr 16
		.amdhsa_next_free_sgpr 16
		.amdhsa_reserve_vcc 1
		.amdhsa_float_round_mode_32 0
		.amdhsa_float_round_mode_16_64 0
		.amdhsa_float_denorm_mode_32 3
		.amdhsa_float_denorm_mode_16_64 3
		.amdhsa_dx10_clamp 1
		.amdhsa_ieee_mode 1
		.amdhsa_fp16_overflow 0
		.amdhsa_workgroup_processor_mode 1
		.amdhsa_memory_ordered 1
		.amdhsa_forward_progress 0
		.amdhsa_shared_vgpr_count 0
		.amdhsa_exception_fp_ieee_invalid_op 0
		.amdhsa_exception_fp_denorm_src 0
		.amdhsa_exception_fp_ieee_div_zero 0
		.amdhsa_exception_fp_ieee_overflow 0
		.amdhsa_exception_fp_ieee_underflow 0
		.amdhsa_exception_fp_ieee_inexact 0
		.amdhsa_exception_int_div_zero 0
	.end_amdhsa_kernel
	.section	.text._ZN9rocsparseL18bsrxmvn_5x5_kernelILj50EdiifddEEvT2_20rocsparse_direction_NS_24const_host_device_scalarIT0_EES1_PKS1_PKT1_SA_S7_PKT3_PKT4_S5_PT5_21rocsparse_index_base_b,"axG",@progbits,_ZN9rocsparseL18bsrxmvn_5x5_kernelILj50EdiifddEEvT2_20rocsparse_direction_NS_24const_host_device_scalarIT0_EES1_PKS1_PKT1_SA_S7_PKT3_PKT4_S5_PT5_21rocsparse_index_base_b,comdat
.Lfunc_end36:
	.size	_ZN9rocsparseL18bsrxmvn_5x5_kernelILj50EdiifddEEvT2_20rocsparse_direction_NS_24const_host_device_scalarIT0_EES1_PKS1_PKT1_SA_S7_PKT3_PKT4_S5_PT5_21rocsparse_index_base_b, .Lfunc_end36-_ZN9rocsparseL18bsrxmvn_5x5_kernelILj50EdiifddEEvT2_20rocsparse_direction_NS_24const_host_device_scalarIT0_EES1_PKS1_PKT1_SA_S7_PKT3_PKT4_S5_PT5_21rocsparse_index_base_b
                                        ; -- End function
	.section	.AMDGPU.csdata,"",@progbits
; Kernel info:
; codeLenInByte = 1448
; NumSgprs: 18
; NumVgprs: 16
; ScratchSize: 0
; MemoryBound: 0
; FloatMode: 240
; IeeeMode: 1
; LDSByteSize: 400 bytes/workgroup (compile time only)
; SGPRBlocks: 2
; VGPRBlocks: 1
; NumSGPRsForWavesPerEU: 18
; NumVGPRsForWavesPerEU: 16
; Occupancy: 16
; WaveLimiterHint : 1
; COMPUTE_PGM_RSRC2:SCRATCH_EN: 0
; COMPUTE_PGM_RSRC2:USER_SGPR: 15
; COMPUTE_PGM_RSRC2:TRAP_HANDLER: 0
; COMPUTE_PGM_RSRC2:TGID_X_EN: 1
; COMPUTE_PGM_RSRC2:TGID_Y_EN: 0
; COMPUTE_PGM_RSRC2:TGID_Z_EN: 0
; COMPUTE_PGM_RSRC2:TIDIG_COMP_CNT: 0
	.section	.text._ZN9rocsparseL18bsrxmvn_5x5_kernelILj50EdlifddEEvT2_20rocsparse_direction_NS_24const_host_device_scalarIT0_EES1_PKS1_PKT1_SA_S7_PKT3_PKT4_S5_PT5_21rocsparse_index_base_b,"axG",@progbits,_ZN9rocsparseL18bsrxmvn_5x5_kernelILj50EdlifddEEvT2_20rocsparse_direction_NS_24const_host_device_scalarIT0_EES1_PKS1_PKT1_SA_S7_PKT3_PKT4_S5_PT5_21rocsparse_index_base_b,comdat
	.globl	_ZN9rocsparseL18bsrxmvn_5x5_kernelILj50EdlifddEEvT2_20rocsparse_direction_NS_24const_host_device_scalarIT0_EES1_PKS1_PKT1_SA_S7_PKT3_PKT4_S5_PT5_21rocsparse_index_base_b ; -- Begin function _ZN9rocsparseL18bsrxmvn_5x5_kernelILj50EdlifddEEvT2_20rocsparse_direction_NS_24const_host_device_scalarIT0_EES1_PKS1_PKT1_SA_S7_PKT3_PKT4_S5_PT5_21rocsparse_index_base_b
	.p2align	8
	.type	_ZN9rocsparseL18bsrxmvn_5x5_kernelILj50EdlifddEEvT2_20rocsparse_direction_NS_24const_host_device_scalarIT0_EES1_PKS1_PKT1_SA_S7_PKT3_PKT4_S5_PT5_21rocsparse_index_base_b,@function
_ZN9rocsparseL18bsrxmvn_5x5_kernelILj50EdlifddEEvT2_20rocsparse_direction_NS_24const_host_device_scalarIT0_EES1_PKS1_PKT1_SA_S7_PKT3_PKT4_S5_PT5_21rocsparse_index_base_b: ; @_ZN9rocsparseL18bsrxmvn_5x5_kernelILj50EdlifddEEvT2_20rocsparse_direction_NS_24const_host_device_scalarIT0_EES1_PKS1_PKT1_SA_S7_PKT3_PKT4_S5_PT5_21rocsparse_index_base_b
; %bb.0:
	s_clause 0x2
	s_load_b64 s[10:11], s[0:1], 0x58
	s_load_b64 s[4:5], s[0:1], 0x8
	;; [unrolled: 1-line block ×3, first 2 shown]
	s_mov_b32 s8, s15
	s_waitcnt lgkmcnt(0)
	s_bitcmp1_b32 s11, 0
	v_dual_mov_b32 v3, s4 :: v_dual_mov_b32 v4, s5
	s_cselect_b32 s6, -1, 0
	s_delay_alu instid0(SALU_CYCLE_1)
	s_and_b32 vcc_lo, exec_lo, s6
	s_xor_b32 s6, s6, -1
	s_cbranch_vccnz .LBB37_2
; %bb.1:
	v_dual_mov_b32 v1, s4 :: v_dual_mov_b32 v2, s5
	flat_load_b64 v[3:4], v[1:2]
.LBB37_2:
	v_dual_mov_b32 v1, s2 :: v_dual_mov_b32 v2, s3
	s_and_not1_b32 vcc_lo, exec_lo, s6
	s_cbranch_vccnz .LBB37_4
; %bb.3:
	v_dual_mov_b32 v1, s2 :: v_dual_mov_b32 v2, s3
	flat_load_b64 v[1:2], v[1:2]
.LBB37_4:
	s_waitcnt vmcnt(0) lgkmcnt(0)
	v_cmp_neq_f64_e32 vcc_lo, 0, v[3:4]
	v_cmp_neq_f64_e64 s2, 1.0, v[1:2]
	s_delay_alu instid0(VALU_DEP_1) | instskip(NEXT) | instid1(SALU_CYCLE_1)
	s_or_b32 s2, vcc_lo, s2
	s_and_saveexec_b32 s3, s2
	s_cbranch_execz .LBB37_34
; %bb.5:
	s_clause 0x1
	s_load_b128 s[4:7], s[0:1], 0x18
	s_load_b64 s[12:13], s[0:1], 0x28
	s_waitcnt lgkmcnt(0)
	s_cmp_eq_u64 s[4:5], 0
	s_cbranch_scc1 .LBB37_7
; %bb.6:
	s_ashr_i32 s9, s8, 31
	s_delay_alu instid0(SALU_CYCLE_1) | instskip(NEXT) | instid1(SALU_CYCLE_1)
	s_lshl_b64 s[2:3], s[8:9], 2
	s_add_u32 s2, s4, s2
	s_addc_u32 s3, s5, s3
	s_load_b32 s2, s[2:3], 0x0
	s_waitcnt lgkmcnt(0)
	s_sub_i32 s8, s2, s10
.LBB37_7:
	s_load_b32 s3, s[0:1], 0x4
	v_mul_u32_u24_e32 v5, 0x3334, v0
	s_delay_alu instid0(VALU_DEP_1) | instskip(NEXT) | instid1(VALU_DEP_1)
	v_lshrrev_b32_e32 v7, 16, v5
	v_mul_lo_u16 v5, v7, 5
	s_delay_alu instid0(VALU_DEP_1)
	v_sub_nc_u16 v12, v0, v5
	v_mov_b32_e32 v5, 0
	v_mov_b32_e32 v6, 0
	s_waitcnt lgkmcnt(0)
	s_cmp_eq_u32 s3, 1
	s_cselect_b32 s2, -1, 0
	s_cmp_lg_u32 s3, 1
	s_cselect_b32 s11, -1, 0
	s_ashr_i32 s9, s8, 31
	s_delay_alu instid0(SALU_CYCLE_1) | instskip(NEXT) | instid1(SALU_CYCLE_1)
	s_lshl_b64 s[4:5], s[8:9], 3
	s_add_u32 s6, s6, s4
	s_addc_u32 s7, s7, s5
	s_add_u32 s3, s6, 8
	s_addc_u32 s9, s7, 0
	;; [unrolled: 2-line block ×3, first 2 shown]
	s_cmp_eq_u64 s[12:13], 0
	s_cselect_b32 s5, s9, s5
	s_cselect_b32 s4, s3, s4
	s_load_b64 s[12:13], s[6:7], 0x0
	s_load_b64 s[6:7], s[4:5], 0x0
	;; [unrolled: 1-line block ×3, first 2 shown]
	s_waitcnt lgkmcnt(0)
	v_cmp_ge_i64_e64 s3, s[12:13], s[6:7]
	s_delay_alu instid0(VALU_DEP_1)
	s_and_b32 vcc_lo, exec_lo, s3
	s_cbranch_vccnz .LBB37_12
; %bb.8:
	v_mul_lo_u16 v8, v7, 52
	v_dual_mov_b32 v6, 0 :: v_dual_lshlrev_b32 v5, 2, v0
	s_clause 0x1
	s_load_b128 s[16:19], s[0:1], 0x30
	s_load_b64 s[0:1], s[0:1], 0x40
	v_and_b32_e32 v11, 0xffff, v12
	v_lshrrev_b16 v10, 8, v8
	s_mul_i32 s9, s10, 0x64
	v_mad_u64_u32 v[8:9], null, 0x64, s12, v[5:6]
	v_and_b32_e32 v5, 0xffff, v0
	s_delay_alu instid0(VALU_DEP_3) | instskip(SKIP_4) | instid1(VALU_DEP_4)
	v_mul_lo_u16 v6, v10, 5
	s_mul_hi_u32 s3, s10, 0x64
	s_sub_u32 s6, s6, s10
	s_subb_u32 s7, s7, 0
	v_mul_u32_u24_e32 v10, 0xa3e, v5
	v_mov_b32_e32 v5, v9
	v_sub_nc_u16 v9, v7, v6
	s_delay_alu instid0(VALU_DEP_3) | instskip(NEXT) | instid1(VALU_DEP_3)
	v_lshrrev_b32_e32 v13, 16, v10
	v_mad_u64_u32 v[6:7], null, 0x64, s13, v[5:6]
	s_delay_alu instid0(VALU_DEP_3) | instskip(NEXT) | instid1(VALU_DEP_3)
	v_and_b32_e32 v5, 0xff, v9
	v_add_co_u32 v9, s14, s12, v13
	s_delay_alu instid0(VALU_DEP_1) | instskip(NEXT) | instid1(VALU_DEP_3)
	v_add_co_ci_u32_e64 v10, null, s13, 0, s14
	v_cndmask_b32_e64 v7, v11, v5, s2
	s_delay_alu instid0(VALU_DEP_3) | instskip(SKIP_1) | instid1(VALU_DEP_4)
	v_sub_co_u32 v5, vcc_lo, v9, s10
	v_mov_b32_e32 v11, v6
	v_subrev_co_ci_u32_e32 v6, vcc_lo, 0, v10, vcc_lo
	v_sub_co_u32 v8, vcc_lo, v8, s9
	s_delay_alu instid0(VALU_DEP_3) | instskip(NEXT) | instid1(VALU_DEP_3)
	v_subrev_co_ci_u32_e32 v9, vcc_lo, s3, v11, vcc_lo
	v_lshlrev_b64 v[10:11], 2, v[5:6]
	s_waitcnt lgkmcnt(0)
	s_delay_alu instid0(VALU_DEP_3) | instskip(NEXT) | instid1(VALU_DEP_3)
	v_add_co_u32 v8, vcc_lo, s18, v8
	v_add_co_ci_u32_e32 v9, vcc_lo, s19, v9, vcc_lo
	v_mov_b32_e32 v5, 0
	v_mov_b32_e32 v6, 0
	v_add_co_u32 v10, vcc_lo, s16, v10
	v_add_co_ci_u32_e32 v11, vcc_lo, s17, v11, vcc_lo
	s_sub_u32 s2, s12, s10
	s_subb_u32 s3, s13, 0
	s_set_inst_prefetch_distance 0x1
	s_branch .LBB37_10
	.p2align	6
.LBB37_9:                               ;   in Loop: Header=BB37_10 Depth=1
	s_or_b32 exec_lo, exec_lo, s9
	s_add_u32 s2, s2, 2
	s_addc_u32 s3, s3, 0
	v_add_co_u32 v8, vcc_lo, 0xc8, v8
	v_cmp_ge_i64_e64 s9, s[2:3], s[6:7]
	v_add_co_ci_u32_e32 v9, vcc_lo, 0, v9, vcc_lo
	v_add_co_u32 v10, vcc_lo, v10, 8
	v_add_co_ci_u32_e32 v11, vcc_lo, 0, v11, vcc_lo
	s_delay_alu instid0(VALU_DEP_4)
	s_and_b32 vcc_lo, exec_lo, s9
	s_cbranch_vccnz .LBB37_12
.LBB37_10:                              ; =>This Inner Loop Header: Depth=1
	v_add_co_u32 v14, s9, v13, s2
	s_delay_alu instid0(VALU_DEP_1) | instskip(SKIP_1) | instid1(VALU_DEP_1)
	v_add_co_ci_u32_e64 v15, null, 0, s3, s9
	s_mov_b32 s9, exec_lo
	v_cmpx_gt_i64_e64 s[6:7], v[14:15]
	s_cbranch_execz .LBB37_9
; %bb.11:                               ;   in Loop: Header=BB37_10 Depth=1
	global_load_b32 v14, v[10:11], off
	global_load_b32 v16, v[8:9], off
	s_waitcnt vmcnt(1)
	v_subrev_nc_u32_e32 v17, s10, v14
	s_delay_alu instid0(VALU_DEP_1) | instskip(SKIP_2) | instid1(VALU_DEP_2)
	v_mad_u64_u32 v[14:15], null, v17, 5, v[7:8]
	s_waitcnt vmcnt(0)
	v_cvt_f64_f32_e32 v[16:17], v16
	v_ashrrev_i32_e32 v15, 31, v14
	s_delay_alu instid0(VALU_DEP_1) | instskip(NEXT) | instid1(VALU_DEP_1)
	v_lshlrev_b64 v[14:15], 3, v[14:15]
	v_add_co_u32 v14, vcc_lo, s0, v14
	s_delay_alu instid0(VALU_DEP_2)
	v_add_co_ci_u32_e32 v15, vcc_lo, s1, v15, vcc_lo
	global_load_b64 v[14:15], v[14:15], off
	s_waitcnt vmcnt(0)
	v_fma_f64 v[5:6], v[16:17], v[14:15], v[5:6]
	s_branch .LBB37_9
.LBB37_12:
	s_set_inst_prefetch_distance 0x2
	v_lshlrev_b32_e32 v7, 3, v0
	s_and_b32 vcc_lo, exec_lo, s11
	ds_store_b64 v7, v[5:6]
	s_waitcnt lgkmcnt(0)
	buffer_gl0_inv
	s_cbranch_vccz .LBB37_22
; %bb.13:
	s_mov_b32 s0, exec_lo
	v_cmpx_gt_u32_e32 25, v0
	s_cbranch_execz .LBB37_15
; %bb.14:
	ds_load_2addr_b64 v[8:11], v7 offset1:25
	s_waitcnt lgkmcnt(0)
	v_add_f64 v[8:9], v[10:11], v[8:9]
	ds_store_b64 v7, v[8:9]
.LBB37_15:
	s_or_b32 exec_lo, exec_lo, s0
	s_delay_alu instid0(SALU_CYCLE_1)
	s_mov_b32 s0, exec_lo
	s_waitcnt lgkmcnt(0)
	buffer_gl0_inv
	v_cmpx_eq_u16_e32 0, v12
	s_cbranch_execz .LBB37_17
; %bb.16:
	ds_load_2addr_b64 v[8:11], v7 offset1:4
	s_waitcnt lgkmcnt(0)
	v_add_f64 v[8:9], v[10:11], v[8:9]
	ds_store_b64 v7, v[8:9]
.LBB37_17:
	s_or_b32 exec_lo, exec_lo, s0
	s_delay_alu instid0(SALU_CYCLE_1)
	s_mov_b32 s0, exec_lo
	s_waitcnt lgkmcnt(0)
	buffer_gl0_inv
	v_cmpx_gt_u16_e32 2, v12
	s_cbranch_execz .LBB37_19
; %bb.18:
	ds_load_2addr_b64 v[8:11], v7 offset1:2
	s_waitcnt lgkmcnt(0)
	v_add_f64 v[8:9], v[10:11], v[8:9]
	ds_store_b64 v7, v[8:9]
.LBB37_19:
	s_or_b32 exec_lo, exec_lo, s0
	s_mov_b32 s0, 0
	s_mov_b32 s1, 0
	s_mov_b32 s2, exec_lo
	s_waitcnt lgkmcnt(0)
	buffer_gl0_inv
                                        ; implicit-def: $vgpr8
                                        ; implicit-def: $vgpr9
	v_cmpx_gt_u32_e32 5, v0
	s_xor_b32 s2, exec_lo, s2
; %bb.20:
	v_mad_u32_u24 v8, v0, 5, 1
	v_lshl_add_u32 v9, v0, 5, v7
	s_mov_b32 s1, exec_lo
; %bb.21:
	s_or_b32 exec_lo, exec_lo, s2
	s_delay_alu instid0(SALU_CYCLE_1)
	s_and_b32 vcc_lo, exec_lo, s0
	s_cbranch_vccnz .LBB37_23
	s_branch .LBB37_32
.LBB37_22:
	s_mov_b32 s1, 0
                                        ; implicit-def: $vgpr8
                                        ; implicit-def: $vgpr9
	s_cbranch_execz .LBB37_32
.LBB37_23:
	v_cmp_gt_u32_e32 vcc_lo, 10, v0
	s_and_saveexec_b32 s0, vcc_lo
	s_cbranch_execz .LBB37_25
; %bb.24:
	ds_load_2addr_b64 v[8:11], v7 offset1:40
	s_waitcnt lgkmcnt(0)
	v_add_f64 v[8:9], v[10:11], v[8:9]
	ds_store_b64 v7, v[8:9]
.LBB37_25:
	s_or_b32 exec_lo, exec_lo, s0
	s_delay_alu instid0(SALU_CYCLE_1)
	s_mov_b32 s2, exec_lo
	s_waitcnt lgkmcnt(0)
	buffer_gl0_inv
	v_cmpx_gt_u32_e32 20, v0
	s_cbranch_execz .LBB37_27
; %bb.26:
	ds_load_2addr_b64 v[8:11], v7 offset1:20
	s_waitcnt lgkmcnt(0)
	v_add_f64 v[8:9], v[10:11], v[8:9]
	ds_store_b64 v7, v[8:9]
.LBB37_27:
	s_or_b32 exec_lo, exec_lo, s2
	s_waitcnt lgkmcnt(0)
	buffer_gl0_inv
	s_and_saveexec_b32 s0, vcc_lo
	s_cbranch_execz .LBB37_29
; %bb.28:
	ds_load_2addr_b64 v[8:11], v7 offset1:10
	s_waitcnt lgkmcnt(0)
	v_add_f64 v[8:9], v[10:11], v[8:9]
	ds_store_b64 v7, v[8:9]
.LBB37_29:
	s_or_b32 exec_lo, exec_lo, s0
	s_delay_alu instid0(SALU_CYCLE_1)
	s_mov_b32 s0, exec_lo
	s_waitcnt lgkmcnt(0)
	buffer_gl0_inv
                                        ; implicit-def: $vgpr8
	v_cmpx_gt_u32_e32 5, v0
; %bb.30:
	v_add_nc_u32_e32 v8, 5, v0
	s_or_b32 s1, s1, exec_lo
                                        ; implicit-def: $vgpr5_vgpr6
; %bb.31:
	s_or_b32 exec_lo, exec_lo, s0
	v_mov_b32_e32 v9, v7
.LBB37_32:
	s_and_saveexec_b32 s0, s1
	s_cbranch_execnz .LBB37_35
; %bb.33:
	s_or_b32 exec_lo, exec_lo, s0
	v_cmp_gt_u32_e32 vcc_lo, 5, v0
	s_and_b32 exec_lo, exec_lo, vcc_lo
	s_cbranch_execnz .LBB37_36
.LBB37_34:
	s_nop 0
	s_sendmsg sendmsg(MSG_DEALLOC_VGPRS)
	s_endpgm
.LBB37_35:
	v_lshlrev_b32_e32 v7, 3, v8
	ds_load_b64 v[5:6], v9
	ds_load_b64 v[7:8], v7
	s_waitcnt lgkmcnt(0)
	v_add_f64 v[5:6], v[5:6], v[7:8]
	s_or_b32 exec_lo, exec_lo, s0
	v_cmp_gt_u32_e32 vcc_lo, 5, v0
	s_and_b32 exec_lo, exec_lo, vcc_lo
	s_cbranch_execz .LBB37_34
.LBB37_36:
	s_delay_alu instid0(VALU_DEP_2)
	v_mul_f64 v[3:4], v[3:4], v[5:6]
	s_mov_b32 s0, exec_lo
	v_cmpx_eq_f64_e32 0, v[1:2]
	s_xor_b32 s0, exec_lo, s0
	s_cbranch_execz .LBB37_38
; %bb.37:
	v_mad_u64_u32 v[1:2], null, s8, 5, v[0:1]
	v_mov_b32_e32 v2, 0
	s_delay_alu instid0(VALU_DEP_1) | instskip(NEXT) | instid1(VALU_DEP_1)
	v_lshlrev_b64 v[0:1], 3, v[1:2]
	v_add_co_u32 v0, vcc_lo, s4, v0
	s_delay_alu instid0(VALU_DEP_2)
	v_add_co_ci_u32_e32 v1, vcc_lo, s5, v1, vcc_lo
	global_store_b64 v[0:1], v[3:4], off
                                        ; implicit-def: $vgpr0
                                        ; implicit-def: $vgpr1_vgpr2
                                        ; implicit-def: $vgpr3_vgpr4
.LBB37_38:
	s_and_not1_saveexec_b32 s0, s0
	s_cbranch_execz .LBB37_34
; %bb.39:
	v_mad_u64_u32 v[5:6], null, s8, 5, v[0:1]
	v_mov_b32_e32 v6, 0
	s_delay_alu instid0(VALU_DEP_1) | instskip(NEXT) | instid1(VALU_DEP_1)
	v_lshlrev_b64 v[5:6], 3, v[5:6]
	v_add_co_u32 v5, vcc_lo, s4, v5
	s_delay_alu instid0(VALU_DEP_2)
	v_add_co_ci_u32_e32 v6, vcc_lo, s5, v6, vcc_lo
	global_load_b64 v[7:8], v[5:6], off
	s_waitcnt vmcnt(0)
	v_fma_f64 v[0:1], v[1:2], v[7:8], v[3:4]
	global_store_b64 v[5:6], v[0:1], off
	s_nop 0
	s_sendmsg sendmsg(MSG_DEALLOC_VGPRS)
	s_endpgm
	.section	.rodata,"a",@progbits
	.p2align	6, 0x0
	.amdhsa_kernel _ZN9rocsparseL18bsrxmvn_5x5_kernelILj50EdlifddEEvT2_20rocsparse_direction_NS_24const_host_device_scalarIT0_EES1_PKS1_PKT1_SA_S7_PKT3_PKT4_S5_PT5_21rocsparse_index_base_b
		.amdhsa_group_segment_fixed_size 400
		.amdhsa_private_segment_fixed_size 0
		.amdhsa_kernarg_size 96
		.amdhsa_user_sgpr_count 15
		.amdhsa_user_sgpr_dispatch_ptr 0
		.amdhsa_user_sgpr_queue_ptr 0
		.amdhsa_user_sgpr_kernarg_segment_ptr 1
		.amdhsa_user_sgpr_dispatch_id 0
		.amdhsa_user_sgpr_private_segment_size 0
		.amdhsa_wavefront_size32 1
		.amdhsa_uses_dynamic_stack 0
		.amdhsa_enable_private_segment 0
		.amdhsa_system_sgpr_workgroup_id_x 1
		.amdhsa_system_sgpr_workgroup_id_y 0
		.amdhsa_system_sgpr_workgroup_id_z 0
		.amdhsa_system_sgpr_workgroup_info 0
		.amdhsa_system_vgpr_workitem_id 0
		.amdhsa_next_free_vgpr 18
		.amdhsa_next_free_sgpr 20
		.amdhsa_reserve_vcc 1
		.amdhsa_float_round_mode_32 0
		.amdhsa_float_round_mode_16_64 0
		.amdhsa_float_denorm_mode_32 3
		.amdhsa_float_denorm_mode_16_64 3
		.amdhsa_dx10_clamp 1
		.amdhsa_ieee_mode 1
		.amdhsa_fp16_overflow 0
		.amdhsa_workgroup_processor_mode 1
		.amdhsa_memory_ordered 1
		.amdhsa_forward_progress 0
		.amdhsa_shared_vgpr_count 0
		.amdhsa_exception_fp_ieee_invalid_op 0
		.amdhsa_exception_fp_denorm_src 0
		.amdhsa_exception_fp_ieee_div_zero 0
		.amdhsa_exception_fp_ieee_overflow 0
		.amdhsa_exception_fp_ieee_underflow 0
		.amdhsa_exception_fp_ieee_inexact 0
		.amdhsa_exception_int_div_zero 0
	.end_amdhsa_kernel
	.section	.text._ZN9rocsparseL18bsrxmvn_5x5_kernelILj50EdlifddEEvT2_20rocsparse_direction_NS_24const_host_device_scalarIT0_EES1_PKS1_PKT1_SA_S7_PKT3_PKT4_S5_PT5_21rocsparse_index_base_b,"axG",@progbits,_ZN9rocsparseL18bsrxmvn_5x5_kernelILj50EdlifddEEvT2_20rocsparse_direction_NS_24const_host_device_scalarIT0_EES1_PKS1_PKT1_SA_S7_PKT3_PKT4_S5_PT5_21rocsparse_index_base_b,comdat
.Lfunc_end37:
	.size	_ZN9rocsparseL18bsrxmvn_5x5_kernelILj50EdlifddEEvT2_20rocsparse_direction_NS_24const_host_device_scalarIT0_EES1_PKS1_PKT1_SA_S7_PKT3_PKT4_S5_PT5_21rocsparse_index_base_b, .Lfunc_end37-_ZN9rocsparseL18bsrxmvn_5x5_kernelILj50EdlifddEEvT2_20rocsparse_direction_NS_24const_host_device_scalarIT0_EES1_PKS1_PKT1_SA_S7_PKT3_PKT4_S5_PT5_21rocsparse_index_base_b
                                        ; -- End function
	.section	.AMDGPU.csdata,"",@progbits
; Kernel info:
; codeLenInByte = 1592
; NumSgprs: 22
; NumVgprs: 18
; ScratchSize: 0
; MemoryBound: 0
; FloatMode: 240
; IeeeMode: 1
; LDSByteSize: 400 bytes/workgroup (compile time only)
; SGPRBlocks: 2
; VGPRBlocks: 2
; NumSGPRsForWavesPerEU: 22
; NumVGPRsForWavesPerEU: 18
; Occupancy: 16
; WaveLimiterHint : 1
; COMPUTE_PGM_RSRC2:SCRATCH_EN: 0
; COMPUTE_PGM_RSRC2:USER_SGPR: 15
; COMPUTE_PGM_RSRC2:TRAP_HANDLER: 0
; COMPUTE_PGM_RSRC2:TGID_X_EN: 1
; COMPUTE_PGM_RSRC2:TGID_Y_EN: 0
; COMPUTE_PGM_RSRC2:TGID_Z_EN: 0
; COMPUTE_PGM_RSRC2:TIDIG_COMP_CNT: 0
	.section	.text._ZN9rocsparseL18bsrxmvn_5x5_kernelILj50EdllfddEEvT2_20rocsparse_direction_NS_24const_host_device_scalarIT0_EES1_PKS1_PKT1_SA_S7_PKT3_PKT4_S5_PT5_21rocsparse_index_base_b,"axG",@progbits,_ZN9rocsparseL18bsrxmvn_5x5_kernelILj50EdllfddEEvT2_20rocsparse_direction_NS_24const_host_device_scalarIT0_EES1_PKS1_PKT1_SA_S7_PKT3_PKT4_S5_PT5_21rocsparse_index_base_b,comdat
	.globl	_ZN9rocsparseL18bsrxmvn_5x5_kernelILj50EdllfddEEvT2_20rocsparse_direction_NS_24const_host_device_scalarIT0_EES1_PKS1_PKT1_SA_S7_PKT3_PKT4_S5_PT5_21rocsparse_index_base_b ; -- Begin function _ZN9rocsparseL18bsrxmvn_5x5_kernelILj50EdllfddEEvT2_20rocsparse_direction_NS_24const_host_device_scalarIT0_EES1_PKS1_PKT1_SA_S7_PKT3_PKT4_S5_PT5_21rocsparse_index_base_b
	.p2align	8
	.type	_ZN9rocsparseL18bsrxmvn_5x5_kernelILj50EdllfddEEvT2_20rocsparse_direction_NS_24const_host_device_scalarIT0_EES1_PKS1_PKT1_SA_S7_PKT3_PKT4_S5_PT5_21rocsparse_index_base_b,@function
_ZN9rocsparseL18bsrxmvn_5x5_kernelILj50EdllfddEEvT2_20rocsparse_direction_NS_24const_host_device_scalarIT0_EES1_PKS1_PKT1_SA_S7_PKT3_PKT4_S5_PT5_21rocsparse_index_base_b: ; @_ZN9rocsparseL18bsrxmvn_5x5_kernelILj50EdllfddEEvT2_20rocsparse_direction_NS_24const_host_device_scalarIT0_EES1_PKS1_PKT1_SA_S7_PKT3_PKT4_S5_PT5_21rocsparse_index_base_b
; %bb.0:
	s_clause 0x2
	s_load_b64 s[10:11], s[0:1], 0x60
	s_load_b64 s[4:5], s[0:1], 0x10
	;; [unrolled: 1-line block ×3, first 2 shown]
	s_mov_b32 s8, s15
	s_waitcnt lgkmcnt(0)
	s_bitcmp1_b32 s11, 0
	v_dual_mov_b32 v4, s4 :: v_dual_mov_b32 v5, s5
	s_cselect_b32 s6, -1, 0
	s_delay_alu instid0(SALU_CYCLE_1)
	s_and_b32 vcc_lo, exec_lo, s6
	s_xor_b32 s6, s6, -1
	s_cbranch_vccnz .LBB38_2
; %bb.1:
	v_dual_mov_b32 v1, s4 :: v_dual_mov_b32 v2, s5
	flat_load_b64 v[4:5], v[1:2]
.LBB38_2:
	v_dual_mov_b32 v2, s2 :: v_dual_mov_b32 v3, s3
	s_and_not1_b32 vcc_lo, exec_lo, s6
	s_cbranch_vccnz .LBB38_4
; %bb.3:
	v_dual_mov_b32 v1, s2 :: v_dual_mov_b32 v2, s3
	flat_load_b64 v[2:3], v[1:2]
.LBB38_4:
	s_waitcnt vmcnt(0) lgkmcnt(0)
	v_cmp_neq_f64_e32 vcc_lo, 0, v[4:5]
	v_cmp_neq_f64_e64 s2, 1.0, v[2:3]
	s_delay_alu instid0(VALU_DEP_1) | instskip(NEXT) | instid1(SALU_CYCLE_1)
	s_or_b32 s2, vcc_lo, s2
	s_and_saveexec_b32 s3, s2
	s_cbranch_execz .LBB38_37
; %bb.5:
	s_clause 0x1
	s_load_b128 s[4:7], s[0:1], 0x20
	s_load_b64 s[12:13], s[0:1], 0x30
	s_mov_b32 s9, 0
	s_waitcnt lgkmcnt(0)
	s_cmp_eq_u64 s[4:5], 0
	s_cbranch_scc1 .LBB38_7
; %bb.6:
	s_lshl_b64 s[2:3], s[8:9], 3
	s_delay_alu instid0(SALU_CYCLE_1)
	s_add_u32 s2, s4, s2
	s_addc_u32 s3, s5, s3
	s_load_b64 s[2:3], s[2:3], 0x0
	s_waitcnt lgkmcnt(0)
	s_sub_u32 s8, s2, s10
	s_subb_u32 s9, s3, 0
.LBB38_7:
	s_load_b32 s3, s[0:1], 0x8
	v_mul_u32_u24_e32 v1, 0x3334, v0
	s_delay_alu instid0(VALU_DEP_1) | instskip(NEXT) | instid1(VALU_DEP_1)
	v_lshrrev_b32_e32 v8, 16, v1
	v_mul_lo_u16 v6, v8, 5
	s_waitcnt lgkmcnt(0)
	s_cmp_eq_u32 s3, 1
	s_cselect_b32 s2, -1, 0
	s_cmp_lg_u32 s3, 1
	s_cselect_b32 s11, -1, 0
	s_lshl_b64 s[4:5], s[8:9], 3
	s_delay_alu instid0(SALU_CYCLE_1)
	s_add_u32 s6, s6, s4
	s_addc_u32 s7, s7, s5
	s_add_u32 s3, s6, 8
	s_addc_u32 s14, s7, 0
	;; [unrolled: 2-line block ×3, first 2 shown]
	s_cmp_eq_u64 s[12:13], 0
	s_cselect_b32 s5, s14, s5
	s_cselect_b32 s4, s3, s4
	s_load_b64 s[6:7], s[6:7], 0x0
	s_load_b64 s[12:13], s[4:5], 0x0
	s_mov_b64 s[14:15], 0
	s_waitcnt lgkmcnt(0)
	v_cmp_lt_i64_e64 s3, s[6:7], s[12:13]
	s_delay_alu instid0(VALU_DEP_1)
	s_and_b32 vcc_lo, exec_lo, s3
	s_cbranch_vccnz .LBB38_9
; %bb.8:
	v_mov_b32_e32 v1, 0
	s_mov_b32 s3, 0
	s_branch .LBB38_10
.LBB38_9:
	s_mov_b32 s3, -1
                                        ; implicit-def: $sgpr14_sgpr15
.LBB38_10:
	s_load_b64 s[4:5], s[0:1], 0x58
	v_sub_nc_u16 v14, v0, v6
	v_dual_mov_b32 v6, s14 :: v_dual_mov_b32 v7, s15
	s_and_not1_b32 vcc_lo, exec_lo, s3
	s_cbranch_vccnz .LBB38_15
; %bb.11:
	v_mul_lo_u16 v6, v8, 52
	v_mov_b32_e32 v1, 0
	s_clause 0x1
	s_load_b64 s[14:15], s[0:1], 0x48
	s_load_b128 s[16:19], s[0:1], 0x38
	s_mul_hi_u32 s1, s10, 0x64
	v_lshrrev_b16 v9, 8, v6
	v_dual_mov_b32 v7, v1 :: v_dual_lshlrev_b32 v6, 2, v0
	v_and_b32_e32 v12, 0xffff, v0
	s_sub_u32 s0, s12, s10
	s_delay_alu instid0(VALU_DEP_3) | instskip(NEXT) | instid1(VALU_DEP_3)
	v_mul_lo_u16 v9, v9, 5
	v_mad_u64_u32 v[10:11], null, 0x64, s6, v[6:7]
	v_and_b32_e32 v7, 0xffff, v14
	s_delay_alu instid0(VALU_DEP_3) | instskip(SKIP_1) | instid1(VALU_DEP_2)
	v_sub_nc_u16 v6, v8, v9
	v_mul_u32_u24_e32 v8, 0xa3e, v12
	v_dual_mov_b32 v6, v11 :: v_dual_and_b32 v9, 0xff, v6
	s_delay_alu instid0(VALU_DEP_2) | instskip(NEXT) | instid1(VALU_DEP_2)
	v_lshrrev_b32_e32 v15, 16, v8
	v_cndmask_b32_e64 v9, v7, v9, s2
	s_delay_alu instid0(VALU_DEP_3) | instskip(NEXT) | instid1(VALU_DEP_3)
	v_mad_u64_u32 v[7:8], null, 0x64, s7, v[6:7]
	v_add_co_u32 v11, s3, s6, v15
	s_delay_alu instid0(VALU_DEP_3) | instskip(SKIP_2) | instid1(VALU_DEP_4)
	v_lshlrev_b32_e32 v6, 3, v9
	v_add_co_ci_u32_e64 v12, null, s7, 0, s3
	s_mul_i32 s2, s10, 0x64
	v_mov_b32_e32 v13, v7
	s_waitcnt lgkmcnt(0)
	v_add_co_u32 v8, s3, s14, v6
	v_sub_co_u32 v6, vcc_lo, v11, s10
	v_subrev_co_ci_u32_e32 v7, vcc_lo, 0, v12, vcc_lo
	v_sub_co_u32 v10, vcc_lo, v10, s2
	v_subrev_co_ci_u32_e32 v11, vcc_lo, s1, v13, vcc_lo
	s_delay_alu instid0(VALU_DEP_3) | instskip(NEXT) | instid1(VALU_DEP_3)
	v_lshlrev_b64 v[12:13], 3, v[6:7]
	v_add_co_u32 v10, vcc_lo, s18, v10
	s_delay_alu instid0(VALU_DEP_3) | instskip(SKIP_1) | instid1(VALU_DEP_4)
	v_add_co_ci_u32_e32 v11, vcc_lo, s19, v11, vcc_lo
	v_mov_b32_e32 v6, 0
	v_add_co_u32 v12, vcc_lo, s16, v12
	v_add_co_ci_u32_e64 v9, null, s15, 0, s3
	v_mov_b32_e32 v7, 0
	v_add_co_ci_u32_e32 v13, vcc_lo, s17, v13, vcc_lo
	s_subb_u32 s1, s13, 0
	s_sub_u32 s2, s6, s10
	s_subb_u32 s3, s7, 0
	s_set_inst_prefetch_distance 0x1
	s_branch .LBB38_13
	.p2align	6
.LBB38_12:                              ;   in Loop: Header=BB38_13 Depth=1
	s_or_b32 exec_lo, exec_lo, s6
	s_add_u32 s2, s2, 2
	s_addc_u32 s3, s3, 0
	v_add_co_u32 v10, vcc_lo, 0xc8, v10
	v_cmp_ge_i64_e64 s6, s[2:3], s[0:1]
	v_add_co_ci_u32_e32 v11, vcc_lo, 0, v11, vcc_lo
	v_add_co_u32 v12, vcc_lo, v12, 16
	v_add_co_ci_u32_e32 v13, vcc_lo, 0, v13, vcc_lo
	s_delay_alu instid0(VALU_DEP_4)
	s_and_b32 vcc_lo, exec_lo, s6
	s_cbranch_vccnz .LBB38_15
.LBB38_13:                              ; =>This Inner Loop Header: Depth=1
	v_add_co_u32 v16, s6, v15, s2
	s_delay_alu instid0(VALU_DEP_1) | instskip(SKIP_1) | instid1(VALU_DEP_1)
	v_add_co_ci_u32_e64 v17, null, 0, s3, s6
	s_mov_b32 s6, exec_lo
	v_cmpx_gt_i64_e64 s[0:1], v[16:17]
	s_cbranch_execz .LBB38_12
; %bb.14:                               ;   in Loop: Header=BB38_13 Depth=1
	global_load_b64 v[16:17], v[12:13], off
	global_load_b32 v20, v[10:11], off
	s_waitcnt vmcnt(1)
	v_sub_co_u32 v18, vcc_lo, v16, s10
	v_subrev_co_ci_u32_e32 v21, vcc_lo, 0, v17, vcc_lo
	s_delay_alu instid0(VALU_DEP_2) | instskip(NEXT) | instid1(VALU_DEP_1)
	v_mad_u64_u32 v[16:17], null, v18, 40, v[8:9]
	v_mad_u64_u32 v[18:19], null, v21, 40, v[17:18]
	s_delay_alu instid0(VALU_DEP_1)
	v_mov_b32_e32 v17, v18
	s_waitcnt vmcnt(0)
	v_cvt_f64_f32_e32 v[18:19], v20
	global_load_b64 v[16:17], v[16:17], off
	s_waitcnt vmcnt(0)
	v_fma_f64 v[6:7], v[18:19], v[16:17], v[6:7]
	s_branch .LBB38_12
.LBB38_15:
	s_set_inst_prefetch_distance 0x2
	v_lshlrev_b32_e32 v8, 3, v0
	s_and_b32 vcc_lo, exec_lo, s11
	ds_store_b64 v8, v[6:7]
	s_waitcnt lgkmcnt(0)
	buffer_gl0_inv
	s_cbranch_vccz .LBB38_25
; %bb.16:
	s_mov_b32 s0, exec_lo
	v_cmpx_gt_u32_e32 25, v0
	s_cbranch_execz .LBB38_18
; %bb.17:
	ds_load_2addr_b64 v[9:12], v8 offset1:25
	s_waitcnt lgkmcnt(0)
	v_add_f64 v[9:10], v[11:12], v[9:10]
	ds_store_b64 v8, v[9:10]
.LBB38_18:
	s_or_b32 exec_lo, exec_lo, s0
	s_delay_alu instid0(SALU_CYCLE_1)
	s_mov_b32 s0, exec_lo
	s_waitcnt lgkmcnt(0)
	buffer_gl0_inv
	v_cmpx_eq_u16_e32 0, v14
	s_cbranch_execz .LBB38_20
; %bb.19:
	ds_load_2addr_b64 v[9:12], v8 offset1:4
	s_waitcnt lgkmcnt(0)
	v_add_f64 v[9:10], v[11:12], v[9:10]
	ds_store_b64 v8, v[9:10]
.LBB38_20:
	s_or_b32 exec_lo, exec_lo, s0
	s_delay_alu instid0(SALU_CYCLE_1)
	s_mov_b32 s0, exec_lo
	s_waitcnt lgkmcnt(0)
	buffer_gl0_inv
	v_cmpx_gt_u16_e32 2, v14
	s_cbranch_execz .LBB38_22
; %bb.21:
	ds_load_2addr_b64 v[9:12], v8 offset1:2
	s_waitcnt lgkmcnt(0)
	v_add_f64 v[9:10], v[11:12], v[9:10]
	ds_store_b64 v8, v[9:10]
.LBB38_22:
	s_or_b32 exec_lo, exec_lo, s0
	s_mov_b32 s0, 0
	s_mov_b32 s1, 0
	s_mov_b32 s2, exec_lo
	s_waitcnt lgkmcnt(0)
	buffer_gl0_inv
                                        ; implicit-def: $vgpr9
                                        ; implicit-def: $vgpr10
	v_cmpx_gt_u32_e32 5, v0
	s_xor_b32 s2, exec_lo, s2
; %bb.23:
	v_mad_u32_u24 v9, v0, 5, 1
	v_lshl_add_u32 v10, v0, 5, v8
	s_mov_b32 s1, exec_lo
; %bb.24:
	s_or_b32 exec_lo, exec_lo, s2
	s_delay_alu instid0(SALU_CYCLE_1)
	s_and_b32 vcc_lo, exec_lo, s0
	s_cbranch_vccnz .LBB38_26
	s_branch .LBB38_35
.LBB38_25:
	s_mov_b32 s1, 0
                                        ; implicit-def: $vgpr9
                                        ; implicit-def: $vgpr10
	s_cbranch_execz .LBB38_35
.LBB38_26:
	v_cmp_gt_u32_e32 vcc_lo, 10, v0
	s_and_saveexec_b32 s0, vcc_lo
	s_cbranch_execz .LBB38_28
; %bb.27:
	ds_load_2addr_b64 v[9:12], v8 offset1:40
	s_waitcnt lgkmcnt(0)
	v_add_f64 v[9:10], v[11:12], v[9:10]
	ds_store_b64 v8, v[9:10]
.LBB38_28:
	s_or_b32 exec_lo, exec_lo, s0
	s_delay_alu instid0(SALU_CYCLE_1)
	s_mov_b32 s2, exec_lo
	s_waitcnt lgkmcnt(0)
	buffer_gl0_inv
	v_cmpx_gt_u32_e32 20, v0
	s_cbranch_execz .LBB38_30
; %bb.29:
	ds_load_2addr_b64 v[9:12], v8 offset1:20
	s_waitcnt lgkmcnt(0)
	v_add_f64 v[9:10], v[11:12], v[9:10]
	ds_store_b64 v8, v[9:10]
.LBB38_30:
	s_or_b32 exec_lo, exec_lo, s2
	s_waitcnt lgkmcnt(0)
	buffer_gl0_inv
	s_and_saveexec_b32 s0, vcc_lo
	s_cbranch_execz .LBB38_32
; %bb.31:
	ds_load_2addr_b64 v[9:12], v8 offset1:10
	s_waitcnt lgkmcnt(0)
	v_add_f64 v[9:10], v[11:12], v[9:10]
	ds_store_b64 v8, v[9:10]
.LBB38_32:
	s_or_b32 exec_lo, exec_lo, s0
	s_delay_alu instid0(SALU_CYCLE_1)
	s_mov_b32 s0, exec_lo
	s_waitcnt lgkmcnt(0)
	buffer_gl0_inv
                                        ; implicit-def: $vgpr9
	v_cmpx_gt_u32_e32 5, v0
; %bb.33:
	v_add_nc_u32_e32 v9, 5, v0
	s_or_b32 s1, s1, exec_lo
                                        ; implicit-def: $vgpr6_vgpr7
; %bb.34:
	s_or_b32 exec_lo, exec_lo, s0
	v_mov_b32_e32 v10, v8
.LBB38_35:
	s_and_saveexec_b32 s0, s1
	s_cbranch_execnz .LBB38_38
; %bb.36:
	s_or_b32 exec_lo, exec_lo, s0
	v_cmp_gt_u32_e32 vcc_lo, 5, v0
	s_and_b32 exec_lo, exec_lo, vcc_lo
	s_cbranch_execnz .LBB38_39
.LBB38_37:
	s_nop 0
	s_sendmsg sendmsg(MSG_DEALLOC_VGPRS)
	s_endpgm
.LBB38_38:
	v_lshlrev_b32_e32 v8, 3, v9
	ds_load_b64 v[6:7], v10
	ds_load_b64 v[8:9], v8
	s_waitcnt lgkmcnt(0)
	v_add_f64 v[6:7], v[6:7], v[8:9]
	s_or_b32 exec_lo, exec_lo, s0
	v_cmp_gt_u32_e32 vcc_lo, 5, v0
	s_and_b32 exec_lo, exec_lo, vcc_lo
	s_cbranch_execz .LBB38_37
.LBB38_39:
	s_delay_alu instid0(VALU_DEP_2)
	v_mul_f64 v[4:5], v[4:5], v[6:7]
	v_lshlrev_b64 v[0:1], 3, v[0:1]
	s_mul_i32 s0, s9, 40
	s_mul_hi_u32 s1, s8, 40
	s_mul_i32 s2, s8, 40
	s_mov_b32 s3, exec_lo
	v_cmpx_eq_f64_e32 0, v[2:3]
	s_xor_b32 s3, exec_lo, s3
	s_cbranch_execz .LBB38_41
; %bb.40:
	s_add_i32 s6, s1, s0
	s_add_u32 s7, s4, s2
	s_addc_u32 s6, s5, s6
	v_add_co_u32 v0, vcc_lo, s7, v0
	v_add_co_ci_u32_e32 v1, vcc_lo, s6, v1, vcc_lo
                                        ; implicit-def: $vgpr2_vgpr3
	global_store_b64 v[0:1], v[4:5], off
                                        ; implicit-def: $vgpr0_vgpr1
                                        ; implicit-def: $vgpr4_vgpr5
.LBB38_41:
	s_and_not1_saveexec_b32 s3, s3
	s_cbranch_execz .LBB38_37
; %bb.42:
	s_add_i32 s1, s1, s0
	s_add_u32 s0, s4, s2
	s_addc_u32 s1, s5, s1
	v_add_co_u32 v0, vcc_lo, s0, v0
	v_add_co_ci_u32_e32 v1, vcc_lo, s1, v1, vcc_lo
	global_load_b64 v[6:7], v[0:1], off
	s_waitcnt vmcnt(0)
	v_fma_f64 v[2:3], v[2:3], v[6:7], v[4:5]
	global_store_b64 v[0:1], v[2:3], off
	s_nop 0
	s_sendmsg sendmsg(MSG_DEALLOC_VGPRS)
	s_endpgm
	.section	.rodata,"a",@progbits
	.p2align	6, 0x0
	.amdhsa_kernel _ZN9rocsparseL18bsrxmvn_5x5_kernelILj50EdllfddEEvT2_20rocsparse_direction_NS_24const_host_device_scalarIT0_EES1_PKS1_PKT1_SA_S7_PKT3_PKT4_S5_PT5_21rocsparse_index_base_b
		.amdhsa_group_segment_fixed_size 400
		.amdhsa_private_segment_fixed_size 0
		.amdhsa_kernarg_size 104
		.amdhsa_user_sgpr_count 15
		.amdhsa_user_sgpr_dispatch_ptr 0
		.amdhsa_user_sgpr_queue_ptr 0
		.amdhsa_user_sgpr_kernarg_segment_ptr 1
		.amdhsa_user_sgpr_dispatch_id 0
		.amdhsa_user_sgpr_private_segment_size 0
		.amdhsa_wavefront_size32 1
		.amdhsa_uses_dynamic_stack 0
		.amdhsa_enable_private_segment 0
		.amdhsa_system_sgpr_workgroup_id_x 1
		.amdhsa_system_sgpr_workgroup_id_y 0
		.amdhsa_system_sgpr_workgroup_id_z 0
		.amdhsa_system_sgpr_workgroup_info 0
		.amdhsa_system_vgpr_workitem_id 0
		.amdhsa_next_free_vgpr 22
		.amdhsa_next_free_sgpr 20
		.amdhsa_reserve_vcc 1
		.amdhsa_float_round_mode_32 0
		.amdhsa_float_round_mode_16_64 0
		.amdhsa_float_denorm_mode_32 3
		.amdhsa_float_denorm_mode_16_64 3
		.amdhsa_dx10_clamp 1
		.amdhsa_ieee_mode 1
		.amdhsa_fp16_overflow 0
		.amdhsa_workgroup_processor_mode 1
		.amdhsa_memory_ordered 1
		.amdhsa_forward_progress 0
		.amdhsa_shared_vgpr_count 0
		.amdhsa_exception_fp_ieee_invalid_op 0
		.amdhsa_exception_fp_denorm_src 0
		.amdhsa_exception_fp_ieee_div_zero 0
		.amdhsa_exception_fp_ieee_overflow 0
		.amdhsa_exception_fp_ieee_underflow 0
		.amdhsa_exception_fp_ieee_inexact 0
		.amdhsa_exception_int_div_zero 0
	.end_amdhsa_kernel
	.section	.text._ZN9rocsparseL18bsrxmvn_5x5_kernelILj50EdllfddEEvT2_20rocsparse_direction_NS_24const_host_device_scalarIT0_EES1_PKS1_PKT1_SA_S7_PKT3_PKT4_S5_PT5_21rocsparse_index_base_b,"axG",@progbits,_ZN9rocsparseL18bsrxmvn_5x5_kernelILj50EdllfddEEvT2_20rocsparse_direction_NS_24const_host_device_scalarIT0_EES1_PKS1_PKT1_SA_S7_PKT3_PKT4_S5_PT5_21rocsparse_index_base_b,comdat
.Lfunc_end38:
	.size	_ZN9rocsparseL18bsrxmvn_5x5_kernelILj50EdllfddEEvT2_20rocsparse_direction_NS_24const_host_device_scalarIT0_EES1_PKS1_PKT1_SA_S7_PKT3_PKT4_S5_PT5_21rocsparse_index_base_b, .Lfunc_end38-_ZN9rocsparseL18bsrxmvn_5x5_kernelILj50EdllfddEEvT2_20rocsparse_direction_NS_24const_host_device_scalarIT0_EES1_PKS1_PKT1_SA_S7_PKT3_PKT4_S5_PT5_21rocsparse_index_base_b
                                        ; -- End function
	.section	.AMDGPU.csdata,"",@progbits
; Kernel info:
; codeLenInByte = 1620
; NumSgprs: 22
; NumVgprs: 22
; ScratchSize: 0
; MemoryBound: 1
; FloatMode: 240
; IeeeMode: 1
; LDSByteSize: 400 bytes/workgroup (compile time only)
; SGPRBlocks: 2
; VGPRBlocks: 2
; NumSGPRsForWavesPerEU: 22
; NumVGPRsForWavesPerEU: 22
; Occupancy: 16
; WaveLimiterHint : 1
; COMPUTE_PGM_RSRC2:SCRATCH_EN: 0
; COMPUTE_PGM_RSRC2:USER_SGPR: 15
; COMPUTE_PGM_RSRC2:TRAP_HANDLER: 0
; COMPUTE_PGM_RSRC2:TGID_X_EN: 1
; COMPUTE_PGM_RSRC2:TGID_Y_EN: 0
; COMPUTE_PGM_RSRC2:TGID_Z_EN: 0
; COMPUTE_PGM_RSRC2:TIDIG_COMP_CNT: 0
	.section	.text._ZN9rocsparseL18bsrxmvn_5x5_kernelILj50E21rocsparse_complex_numIdEiiS1_IfES2_S2_EEvT2_20rocsparse_direction_NS_24const_host_device_scalarIT0_EES4_PKS4_PKT1_SD_SA_PKT3_PKT4_S8_PT5_21rocsparse_index_base_b,"axG",@progbits,_ZN9rocsparseL18bsrxmvn_5x5_kernelILj50E21rocsparse_complex_numIdEiiS1_IfES2_S2_EEvT2_20rocsparse_direction_NS_24const_host_device_scalarIT0_EES4_PKS4_PKT1_SD_SA_PKT3_PKT4_S8_PT5_21rocsparse_index_base_b,comdat
	.globl	_ZN9rocsparseL18bsrxmvn_5x5_kernelILj50E21rocsparse_complex_numIdEiiS1_IfES2_S2_EEvT2_20rocsparse_direction_NS_24const_host_device_scalarIT0_EES4_PKS4_PKT1_SD_SA_PKT3_PKT4_S8_PT5_21rocsparse_index_base_b ; -- Begin function _ZN9rocsparseL18bsrxmvn_5x5_kernelILj50E21rocsparse_complex_numIdEiiS1_IfES2_S2_EEvT2_20rocsparse_direction_NS_24const_host_device_scalarIT0_EES4_PKS4_PKT1_SD_SA_PKT3_PKT4_S8_PT5_21rocsparse_index_base_b
	.p2align	8
	.type	_ZN9rocsparseL18bsrxmvn_5x5_kernelILj50E21rocsparse_complex_numIdEiiS1_IfES2_S2_EEvT2_20rocsparse_direction_NS_24const_host_device_scalarIT0_EES4_PKS4_PKT1_SD_SA_PKT3_PKT4_S8_PT5_21rocsparse_index_base_b,@function
_ZN9rocsparseL18bsrxmvn_5x5_kernelILj50E21rocsparse_complex_numIdEiiS1_IfES2_S2_EEvT2_20rocsparse_direction_NS_24const_host_device_scalarIT0_EES4_PKS4_PKT1_SD_SA_PKT3_PKT4_S8_PT5_21rocsparse_index_base_b: ; @_ZN9rocsparseL18bsrxmvn_5x5_kernelILj50E21rocsparse_complex_numIdEiiS1_IfES2_S2_EEvT2_20rocsparse_direction_NS_24const_host_device_scalarIT0_EES4_PKS4_PKT1_SD_SA_PKT3_PKT4_S8_PT5_21rocsparse_index_base_b
; %bb.0:
	s_mov_b32 s12, s15
	s_load_b64 s[14:15], s[2:3], 0x68
	s_load_b64 s[16:17], s[0:1], 0x4
	s_load_b128 s[8:11], s[2:3], 0x8
	v_bfe_u32 v1, v0, 10, 10
	s_mov_b64 s[0:1], src_shared_base
	s_load_b128 s[4:7], s[2:3], 0x50
	v_and_b32_e32 v4, 0x3ff, v0
	v_bfe_u32 v0, v0, 20, 10
	s_waitcnt lgkmcnt(0)
	s_bitcmp1_b32 s15, 0
	v_mul_u32_u24_e32 v1, s17, v1
	s_cselect_b32 s0, -1, 0
	v_mov_b32_e32 v12, s11
	s_and_b32 vcc_lo, s0, exec_lo
	s_cselect_b32 s13, s1, s9
	s_lshr_b32 s15, s16, 16
	v_dual_mov_b32 v2, s4 :: v_dual_mov_b32 v3, s5
	s_mul_i32 s15, s15, s17
	v_dual_mov_b32 v6, s13 :: v_dual_mov_b32 v11, s10
	v_mad_u32_u24 v1, s15, v4, v1
	s_xor_b32 s10, s0, -1
	s_delay_alu instid0(VALU_DEP_1) | instskip(SKIP_1) | instid1(VALU_DEP_2)
	v_add_lshl_u32 v7, v1, v0, 3
	v_dual_mov_b32 v0, s8 :: v_dual_mov_b32 v1, s9
	v_add_nc_u32_e32 v5, 0x4b0, v7
	ds_store_2addr_b64 v7, v[2:3], v[0:1] offset0:100 offset1:150
	v_add_nc_u32_e32 v0, 0x320, v7
	v_cndmask_b32_e64 v5, s8, v5, s0
	flat_load_b64 v[9:10], v[5:6]
	s_cbranch_vccnz .LBB39_2
; %bb.1:
	v_dual_mov_b32 v1, s8 :: v_dual_mov_b32 v2, s9
	flat_load_b64 v[11:12], v[1:2] offset:8
.LBB39_2:
	s_and_b32 s8, s0, exec_lo
	s_cselect_b32 s1, s1, s5
	v_cndmask_b32_e64 v0, s4, v0, s0
	v_dual_mov_b32 v1, s1 :: v_dual_mov_b32 v8, s7
	v_mov_b32_e32 v7, s6
	s_and_not1_b32 vcc_lo, exec_lo, s10
	flat_load_b64 v[5:6], v[0:1]
	s_cbranch_vccnz .LBB39_4
; %bb.3:
	v_dual_mov_b32 v0, s4 :: v_dual_mov_b32 v1, s5
	flat_load_b64 v[7:8], v[0:1] offset:8
.LBB39_4:
	s_waitcnt vmcnt(1) lgkmcnt(1)
	v_cmp_eq_f64_e32 vcc_lo, 0, v[9:10]
	v_cmp_eq_f64_e64 s0, 0, v[11:12]
	s_delay_alu instid0(VALU_DEP_1)
	s_and_b32 s4, vcc_lo, s0
	s_mov_b32 s0, -1
	s_and_saveexec_b32 s1, s4
	s_cbranch_execz .LBB39_6
; %bb.5:
	s_waitcnt vmcnt(0) lgkmcnt(0)
	v_cmp_neq_f64_e32 vcc_lo, 1.0, v[5:6]
	v_cmp_neq_f64_e64 s0, 0, v[7:8]
	s_delay_alu instid0(VALU_DEP_1) | instskip(NEXT) | instid1(SALU_CYCLE_1)
	s_or_b32 s0, vcc_lo, s0
	s_or_not1_b32 s0, s0, exec_lo
.LBB39_6:
	s_or_b32 exec_lo, exec_lo, s1
	s_and_saveexec_b32 s1, s0
	s_cbranch_execz .LBB39_39
; %bb.7:
	s_clause 0x1
	s_load_b128 s[4:7], s[2:3], 0x20
	s_load_b64 s[0:1], s[2:3], 0x30
	s_waitcnt lgkmcnt(0)
	s_cmp_eq_u64 s[4:5], 0
	s_cbranch_scc1 .LBB39_9
; %bb.8:
	s_ashr_i32 s13, s12, 31
	s_delay_alu instid0(SALU_CYCLE_1) | instskip(NEXT) | instid1(SALU_CYCLE_1)
	s_lshl_b64 s[8:9], s[12:13], 2
	s_add_u32 s4, s4, s8
	s_addc_u32 s5, s5, s9
	s_load_b32 s4, s[4:5], 0x0
	s_waitcnt lgkmcnt(0)
	s_sub_i32 s12, s4, s14
.LBB39_9:
	s_load_b32 s4, s[2:3], 0x4
	v_mul_u32_u24_e32 v0, 0x3334, v4
	v_mov_b32_e32 v2, 0
	v_mov_b32_e32 v3, 0
	s_delay_alu instid0(VALU_DEP_3) | instskip(NEXT) | instid1(VALU_DEP_1)
	v_lshrrev_b32_e32 v13, 16, v0
	v_mul_lo_u16 v0, v13, 5
	s_delay_alu instid0(VALU_DEP_1) | instskip(NEXT) | instid1(VALU_DEP_4)
	v_sub_nc_u16 v18, v4, v0
	v_dual_mov_b32 v0, v2 :: v_dual_mov_b32 v1, v3
	s_waitcnt lgkmcnt(0)
	s_cmp_eq_u32 s4, 1
	s_cselect_b32 vcc_lo, -1, 0
	s_cmp_lg_u32 s4, 1
	s_cselect_b32 s8, -1, 0
	s_ashr_i32 s13, s12, 31
	s_delay_alu instid0(SALU_CYCLE_1) | instskip(NEXT) | instid1(SALU_CYCLE_1)
	s_lshl_b64 s[4:5], s[12:13], 2
	s_add_u32 s6, s6, s4
	s_addc_u32 s7, s7, s5
	s_add_u32 s9, s6, 4
	s_addc_u32 s10, s7, 0
	;; [unrolled: 2-line block ×3, first 2 shown]
	s_cmp_eq_u64 s[0:1], 0
	s_cselect_b32 s1, s10, s5
	s_cselect_b32 s0, s9, s4
	s_load_b32 s10, s[6:7], 0x0
	s_load_b32 s9, s[0:1], 0x0
	s_load_b64 s[4:5], s[2:3], 0x60
	s_waitcnt lgkmcnt(0)
	s_cmp_ge_i32 s10, s9
	s_cbranch_scc1 .LBB39_14
; %bb.10:
	v_mul_lo_u16 v0, v13, 52
	s_clause 0x1
	s_load_b64 s[6:7], s[2:3], 0x48
	s_load_b128 s[0:3], s[2:3], 0x38
	v_and_b32_e32 v14, 0xffff, v4
	v_and_b32_e32 v15, 0xffff, v18
	s_mul_i32 s11, s14, 25
	v_lshrrev_b16 v0, 8, v0
	s_sub_i32 s9, s9, s14
	s_delay_alu instid0(VALU_DEP_1) | instskip(SKIP_3) | instid1(VALU_DEP_2)
	v_mul_lo_u16 v2, v0, 5
	s_waitcnt vmcnt(0)
	v_mad_u64_u32 v[0:1], null, s10, 25, v[4:5]
	s_sub_i32 s10, s10, s14
	v_sub_nc_u16 v1, v13, v2
	v_mov_b32_e32 v2, 0
	v_mov_b32_e32 v3, 0
	v_mul_u32_u24_e32 v16, 0xa3e, v14
	v_subrev_nc_u32_e32 v13, s11, v0
	v_dual_mov_b32 v14, 0 :: v_dual_and_b32 v1, 0xff, v1
	s_delay_alu instid0(VALU_DEP_3) | instskip(NEXT) | instid1(VALU_DEP_2)
	v_lshrrev_b32_e32 v19, 16, v16
	v_dual_cndmask_b32 v15, v15, v1 :: v_dual_mov_b32 v0, v2
	v_mov_b32_e32 v1, v3
	s_set_inst_prefetch_distance 0x1
	s_branch .LBB39_12
	.p2align	6
.LBB39_11:                              ;   in Loop: Header=BB39_12 Depth=1
	s_or_b32 exec_lo, exec_lo, s11
	v_add_nc_u32_e32 v13, 50, v13
	s_add_i32 s10, s10, 2
	s_delay_alu instid0(SALU_CYCLE_1)
	s_cmp_ge_i32 s10, s9
	s_cbranch_scc1 .LBB39_14
.LBB39_12:                              ; =>This Inner Loop Header: Depth=1
	v_add_nc_u32_e32 v16, s10, v19
	s_mov_b32 s11, exec_lo
	s_delay_alu instid0(VALU_DEP_1)
	v_cmpx_gt_i32_e64 s9, v16
	s_cbranch_execz .LBB39_11
; %bb.13:                               ;   in Loop: Header=BB39_12 Depth=1
	v_ashrrev_i32_e32 v17, 31, v16
	s_delay_alu instid0(VALU_DEP_1) | instskip(SKIP_1) | instid1(VALU_DEP_1)
	v_lshlrev_b64 v[16:17], 2, v[16:17]
	s_waitcnt lgkmcnt(0)
	v_add_co_u32 v16, vcc_lo, s0, v16
	s_delay_alu instid0(VALU_DEP_2) | instskip(SKIP_2) | instid1(VALU_DEP_1)
	v_add_co_ci_u32_e32 v17, vcc_lo, s1, v17, vcc_lo
	global_load_b32 v20, v[16:17], off
	v_lshlrev_b64 v[16:17], 3, v[13:14]
	v_add_co_u32 v16, vcc_lo, s2, v16
	s_delay_alu instid0(VALU_DEP_2) | instskip(SKIP_4) | instid1(VALU_DEP_1)
	v_add_co_ci_u32_e32 v17, vcc_lo, s3, v17, vcc_lo
	global_load_b64 v[16:17], v[16:17], off
	s_waitcnt vmcnt(1)
	v_subrev_nc_u32_e32 v22, s14, v20
	s_waitcnt vmcnt(0)
	v_mad_u64_u32 v[20:21], null, v22, 5, v[15:16]
	v_cvt_f64_f32_e32 v[24:25], v16
	v_cvt_f64_f32_e32 v[16:17], v17
	s_delay_alu instid0(VALU_DEP_3) | instskip(NEXT) | instid1(VALU_DEP_1)
	v_ashrrev_i32_e32 v21, 31, v20
	v_lshlrev_b64 v[20:21], 4, v[20:21]
	s_delay_alu instid0(VALU_DEP_1) | instskip(NEXT) | instid1(VALU_DEP_2)
	v_add_co_u32 v20, vcc_lo, s6, v20
	v_add_co_ci_u32_e32 v21, vcc_lo, s7, v21, vcc_lo
	global_load_b128 v[20:23], v[20:21], off
	s_waitcnt vmcnt(0)
	v_fma_f64 v[0:1], v[24:25], v[20:21], v[0:1]
	v_fma_f64 v[2:3], v[16:17], v[20:21], v[2:3]
	s_delay_alu instid0(VALU_DEP_2) | instskip(NEXT) | instid1(VALU_DEP_2)
	v_fma_f64 v[0:1], -v[16:17], v[22:23], v[0:1]
	v_fma_f64 v[2:3], v[24:25], v[22:23], v[2:3]
	s_branch .LBB39_11
.LBB39_14:
	s_set_inst_prefetch_distance 0x2
	v_lshlrev_b32_e32 v17, 4, v4
	s_and_b32 vcc_lo, exec_lo, s8
	ds_store_b128 v17, v[0:3]
	s_waitcnt vmcnt(0) lgkmcnt(0)
	buffer_gl0_inv
	s_cbranch_vccz .LBB39_24
; %bb.15:
	s_mov_b32 s0, exec_lo
	v_cmpx_gt_u32_e32 25, v4
	s_cbranch_execz .LBB39_17
; %bb.16:
	ds_load_b128 v[13:16], v17 offset:400
	ds_load_b128 v[19:22], v17
	s_waitcnt lgkmcnt(0)
	v_add_f64 v[13:14], v[13:14], v[19:20]
	v_add_f64 v[15:16], v[15:16], v[21:22]
	ds_store_b128 v17, v[13:16]
.LBB39_17:
	s_or_b32 exec_lo, exec_lo, s0
	s_delay_alu instid0(SALU_CYCLE_1)
	s_mov_b32 s0, exec_lo
	s_waitcnt lgkmcnt(0)
	buffer_gl0_inv
	v_cmpx_eq_u16_e32 0, v18
	s_cbranch_execz .LBB39_19
; %bb.18:
	ds_load_b128 v[13:16], v17 offset:64
	ds_load_b128 v[19:22], v17
	s_waitcnt lgkmcnt(0)
	v_add_f64 v[13:14], v[13:14], v[19:20]
	v_add_f64 v[15:16], v[15:16], v[21:22]
	ds_store_b128 v17, v[13:16]
.LBB39_19:
	s_or_b32 exec_lo, exec_lo, s0
	s_delay_alu instid0(SALU_CYCLE_1)
	s_mov_b32 s0, exec_lo
	s_waitcnt lgkmcnt(0)
	buffer_gl0_inv
	v_cmpx_gt_u16_e32 2, v18
	s_cbranch_execz .LBB39_21
; %bb.20:
	ds_load_b128 v[13:16], v17
	ds_load_b128 v[18:21], v17 offset:32
	s_waitcnt lgkmcnt(0)
	v_add_f64 v[13:14], v[18:19], v[13:14]
	v_add_f64 v[15:16], v[20:21], v[15:16]
	ds_store_b128 v17, v[13:16]
.LBB39_21:
	s_or_b32 exec_lo, exec_lo, s0
	v_dual_mov_b32 v16, v3 :: v_dual_mov_b32 v15, v2
	v_dual_mov_b32 v14, v1 :: v_dual_mov_b32 v13, v0
	s_mov_b32 s0, exec_lo
	s_waitcnt lgkmcnt(0)
	buffer_gl0_inv
	v_cmpx_gt_u32_e32 5, v4
	s_cbranch_execz .LBB39_23
; %bb.22:
	v_lshl_add_u32 v18, v4, 6, v17
	ds_load_b128 v[13:16], v18
	ds_load_b128 v[18:21], v18 offset:16
	s_waitcnt lgkmcnt(0)
	v_add_f64 v[13:14], v[18:19], v[13:14]
	v_add_f64 v[15:16], v[20:21], v[15:16]
.LBB39_23:
	s_or_b32 exec_lo, exec_lo, s0
	s_branch .LBB39_34
.LBB39_24:
                                        ; implicit-def: $vgpr15_vgpr16
                                        ; implicit-def: $vgpr13_vgpr14
	s_cbranch_execz .LBB39_34
; %bb.25:
	v_cmp_gt_u32_e32 vcc_lo, 10, v4
	s_and_saveexec_b32 s0, vcc_lo
	s_cbranch_execz .LBB39_27
; %bb.26:
	ds_load_b128 v[13:16], v17 offset:640
	ds_load_b128 v[18:21], v17
	s_waitcnt lgkmcnt(0)
	v_add_f64 v[13:14], v[13:14], v[18:19]
	v_add_f64 v[15:16], v[15:16], v[20:21]
	ds_store_b128 v17, v[13:16]
.LBB39_27:
	s_or_b32 exec_lo, exec_lo, s0
	s_delay_alu instid0(SALU_CYCLE_1)
	s_mov_b32 s1, exec_lo
	s_waitcnt lgkmcnt(0)
	buffer_gl0_inv
	v_cmpx_gt_u32_e32 20, v4
	s_cbranch_execz .LBB39_29
; %bb.28:
	ds_load_b128 v[13:16], v17 offset:320
	ds_load_b128 v[18:21], v17
	s_waitcnt lgkmcnt(0)
	v_add_f64 v[13:14], v[13:14], v[18:19]
	v_add_f64 v[15:16], v[15:16], v[20:21]
	ds_store_b128 v17, v[13:16]
.LBB39_29:
	s_or_b32 exec_lo, exec_lo, s1
	s_waitcnt lgkmcnt(0)
	buffer_gl0_inv
	s_and_saveexec_b32 s0, vcc_lo
	s_cbranch_execz .LBB39_31
; %bb.30:
	ds_load_b128 v[13:16], v17 offset:160
	ds_load_b128 v[18:21], v17
	s_waitcnt lgkmcnt(0)
	v_add_f64 v[13:14], v[13:14], v[18:19]
	v_add_f64 v[15:16], v[15:16], v[20:21]
	ds_store_b128 v17, v[13:16]
.LBB39_31:
	s_or_b32 exec_lo, exec_lo, s0
	s_delay_alu instid0(SALU_CYCLE_1)
	s_mov_b32 s0, exec_lo
	s_waitcnt lgkmcnt(0)
	buffer_gl0_inv
	v_cmpx_gt_u32_e32 5, v4
	s_cbranch_execz .LBB39_33
; %bb.32:
	ds_load_b128 v[0:3], v17 offset:80
	ds_load_b128 v[13:16], v17
	s_waitcnt lgkmcnt(0)
	v_add_f64 v[0:1], v[0:1], v[13:14]
	v_add_f64 v[2:3], v[2:3], v[15:16]
.LBB39_33:
	s_or_b32 exec_lo, exec_lo, s0
	s_delay_alu instid0(VALU_DEP_1) | instskip(NEXT) | instid1(VALU_DEP_3)
	v_dual_mov_b32 v16, v3 :: v_dual_mov_b32 v15, v2
	v_dual_mov_b32 v14, v1 :: v_dual_mov_b32 v13, v0
.LBB39_34:
	v_cmp_gt_u32_e32 vcc_lo, 5, v4
	s_and_b32 exec_lo, exec_lo, vcc_lo
	s_cbranch_execz .LBB39_39
; %bb.35:
	s_delay_alu instid0(VALU_DEP_2) | instskip(SKIP_3) | instid1(VALU_DEP_4)
	v_mul_f64 v[0:1], v[15:16], -v[11:12]
	v_mul_f64 v[2:3], v[9:10], v[15:16]
	v_cmp_eq_f64_e32 vcc_lo, 0, v[5:6]
	v_cmp_eq_f64_e64 s0, 0, v[7:8]
	v_fma_f64 v[0:1], v[9:10], v[13:14], v[0:1]
	s_delay_alu instid0(VALU_DEP_4) | instskip(NEXT) | instid1(VALU_DEP_3)
	v_fma_f64 v[2:3], v[11:12], v[13:14], v[2:3]
	s_and_b32 s0, vcc_lo, s0
	s_delay_alu instid0(SALU_CYCLE_1) | instskip(NEXT) | instid1(SALU_CYCLE_1)
	s_and_saveexec_b32 s1, s0
	s_xor_b32 s0, exec_lo, s1
	s_cbranch_execz .LBB39_37
; %bb.36:
	v_mad_u64_u32 v[5:6], null, s12, 5, v[4:5]
	v_mov_b32_e32 v6, 0
                                        ; implicit-def: $vgpr7_vgpr8
	s_delay_alu instid0(VALU_DEP_1) | instskip(NEXT) | instid1(VALU_DEP_1)
	v_lshlrev_b64 v[4:5], 4, v[5:6]
	v_add_co_u32 v4, vcc_lo, s4, v4
	s_delay_alu instid0(VALU_DEP_2)
	v_add_co_ci_u32_e32 v5, vcc_lo, s5, v5, vcc_lo
	global_store_b128 v[4:5], v[0:3], off
                                        ; implicit-def: $vgpr4
                                        ; implicit-def: $vgpr5_vgpr6
                                        ; implicit-def: $vgpr0_vgpr1
.LBB39_37:
	s_and_not1_saveexec_b32 s0, s0
	s_cbranch_execz .LBB39_39
; %bb.38:
	v_mad_u64_u32 v[9:10], null, s12, 5, v[4:5]
	v_mov_b32_e32 v10, 0
	s_delay_alu instid0(VALU_DEP_1) | instskip(NEXT) | instid1(VALU_DEP_1)
	v_lshlrev_b64 v[9:10], 4, v[9:10]
	v_add_co_u32 v13, vcc_lo, s4, v9
	s_delay_alu instid0(VALU_DEP_2) | instskip(SKIP_4) | instid1(VALU_DEP_2)
	v_add_co_ci_u32_e32 v14, vcc_lo, s5, v10, vcc_lo
	global_load_b128 v[9:12], v[13:14], off
	s_waitcnt vmcnt(0)
	v_fma_f64 v[0:1], v[5:6], v[9:10], v[0:1]
	v_fma_f64 v[2:3], v[7:8], v[9:10], v[2:3]
	v_fma_f64 v[0:1], -v[7:8], v[11:12], v[0:1]
	s_delay_alu instid0(VALU_DEP_2)
	v_fma_f64 v[2:3], v[5:6], v[11:12], v[2:3]
	global_store_b128 v[13:14], v[0:3], off
.LBB39_39:
	s_nop 0
	s_sendmsg sendmsg(MSG_DEALLOC_VGPRS)
	s_endpgm
	.section	.rodata,"a",@progbits
	.p2align	6, 0x0
	.amdhsa_kernel _ZN9rocsparseL18bsrxmvn_5x5_kernelILj50E21rocsparse_complex_numIdEiiS1_IfES2_S2_EEvT2_20rocsparse_direction_NS_24const_host_device_scalarIT0_EES4_PKS4_PKT1_SD_SA_PKT3_PKT4_S8_PT5_21rocsparse_index_base_b
		.amdhsa_group_segment_fixed_size 1600
		.amdhsa_private_segment_fixed_size 0
		.amdhsa_kernarg_size 112
		.amdhsa_user_sgpr_count 15
		.amdhsa_user_sgpr_dispatch_ptr 1
		.amdhsa_user_sgpr_queue_ptr 0
		.amdhsa_user_sgpr_kernarg_segment_ptr 1
		.amdhsa_user_sgpr_dispatch_id 0
		.amdhsa_user_sgpr_private_segment_size 0
		.amdhsa_wavefront_size32 1
		.amdhsa_uses_dynamic_stack 0
		.amdhsa_enable_private_segment 0
		.amdhsa_system_sgpr_workgroup_id_x 1
		.amdhsa_system_sgpr_workgroup_id_y 0
		.amdhsa_system_sgpr_workgroup_id_z 0
		.amdhsa_system_sgpr_workgroup_info 0
		.amdhsa_system_vgpr_workitem_id 2
		.amdhsa_next_free_vgpr 26
		.amdhsa_next_free_sgpr 18
		.amdhsa_reserve_vcc 1
		.amdhsa_float_round_mode_32 0
		.amdhsa_float_round_mode_16_64 0
		.amdhsa_float_denorm_mode_32 3
		.amdhsa_float_denorm_mode_16_64 3
		.amdhsa_dx10_clamp 1
		.amdhsa_ieee_mode 1
		.amdhsa_fp16_overflow 0
		.amdhsa_workgroup_processor_mode 1
		.amdhsa_memory_ordered 1
		.amdhsa_forward_progress 0
		.amdhsa_shared_vgpr_count 0
		.amdhsa_exception_fp_ieee_invalid_op 0
		.amdhsa_exception_fp_denorm_src 0
		.amdhsa_exception_fp_ieee_div_zero 0
		.amdhsa_exception_fp_ieee_overflow 0
		.amdhsa_exception_fp_ieee_underflow 0
		.amdhsa_exception_fp_ieee_inexact 0
		.amdhsa_exception_int_div_zero 0
	.end_amdhsa_kernel
	.section	.text._ZN9rocsparseL18bsrxmvn_5x5_kernelILj50E21rocsparse_complex_numIdEiiS1_IfES2_S2_EEvT2_20rocsparse_direction_NS_24const_host_device_scalarIT0_EES4_PKS4_PKT1_SD_SA_PKT3_PKT4_S8_PT5_21rocsparse_index_base_b,"axG",@progbits,_ZN9rocsparseL18bsrxmvn_5x5_kernelILj50E21rocsparse_complex_numIdEiiS1_IfES2_S2_EEvT2_20rocsparse_direction_NS_24const_host_device_scalarIT0_EES4_PKS4_PKT1_SD_SA_PKT3_PKT4_S8_PT5_21rocsparse_index_base_b,comdat
.Lfunc_end39:
	.size	_ZN9rocsparseL18bsrxmvn_5x5_kernelILj50E21rocsparse_complex_numIdEiiS1_IfES2_S2_EEvT2_20rocsparse_direction_NS_24const_host_device_scalarIT0_EES4_PKS4_PKT1_SD_SA_PKT3_PKT4_S8_PT5_21rocsparse_index_base_b, .Lfunc_end39-_ZN9rocsparseL18bsrxmvn_5x5_kernelILj50E21rocsparse_complex_numIdEiiS1_IfES2_S2_EEvT2_20rocsparse_direction_NS_24const_host_device_scalarIT0_EES4_PKS4_PKT1_SD_SA_PKT3_PKT4_S8_PT5_21rocsparse_index_base_b
                                        ; -- End function
	.section	.AMDGPU.csdata,"",@progbits
; Kernel info:
; codeLenInByte = 1852
; NumSgprs: 20
; NumVgprs: 26
; ScratchSize: 0
; MemoryBound: 0
; FloatMode: 240
; IeeeMode: 1
; LDSByteSize: 1600 bytes/workgroup (compile time only)
; SGPRBlocks: 2
; VGPRBlocks: 3
; NumSGPRsForWavesPerEU: 20
; NumVGPRsForWavesPerEU: 26
; Occupancy: 16
; WaveLimiterHint : 1
; COMPUTE_PGM_RSRC2:SCRATCH_EN: 0
; COMPUTE_PGM_RSRC2:USER_SGPR: 15
; COMPUTE_PGM_RSRC2:TRAP_HANDLER: 0
; COMPUTE_PGM_RSRC2:TGID_X_EN: 1
; COMPUTE_PGM_RSRC2:TGID_Y_EN: 0
; COMPUTE_PGM_RSRC2:TGID_Z_EN: 0
; COMPUTE_PGM_RSRC2:TIDIG_COMP_CNT: 2
	.section	.text._ZN9rocsparseL18bsrxmvn_5x5_kernelILj50E21rocsparse_complex_numIdEliS1_IfES2_S2_EEvT2_20rocsparse_direction_NS_24const_host_device_scalarIT0_EES4_PKS4_PKT1_SD_SA_PKT3_PKT4_S8_PT5_21rocsparse_index_base_b,"axG",@progbits,_ZN9rocsparseL18bsrxmvn_5x5_kernelILj50E21rocsparse_complex_numIdEliS1_IfES2_S2_EEvT2_20rocsparse_direction_NS_24const_host_device_scalarIT0_EES4_PKS4_PKT1_SD_SA_PKT3_PKT4_S8_PT5_21rocsparse_index_base_b,comdat
	.globl	_ZN9rocsparseL18bsrxmvn_5x5_kernelILj50E21rocsparse_complex_numIdEliS1_IfES2_S2_EEvT2_20rocsparse_direction_NS_24const_host_device_scalarIT0_EES4_PKS4_PKT1_SD_SA_PKT3_PKT4_S8_PT5_21rocsparse_index_base_b ; -- Begin function _ZN9rocsparseL18bsrxmvn_5x5_kernelILj50E21rocsparse_complex_numIdEliS1_IfES2_S2_EEvT2_20rocsparse_direction_NS_24const_host_device_scalarIT0_EES4_PKS4_PKT1_SD_SA_PKT3_PKT4_S8_PT5_21rocsparse_index_base_b
	.p2align	8
	.type	_ZN9rocsparseL18bsrxmvn_5x5_kernelILj50E21rocsparse_complex_numIdEliS1_IfES2_S2_EEvT2_20rocsparse_direction_NS_24const_host_device_scalarIT0_EES4_PKS4_PKT1_SD_SA_PKT3_PKT4_S8_PT5_21rocsparse_index_base_b,@function
_ZN9rocsparseL18bsrxmvn_5x5_kernelILj50E21rocsparse_complex_numIdEliS1_IfES2_S2_EEvT2_20rocsparse_direction_NS_24const_host_device_scalarIT0_EES4_PKS4_PKT1_SD_SA_PKT3_PKT4_S8_PT5_21rocsparse_index_base_b: ; @_ZN9rocsparseL18bsrxmvn_5x5_kernelILj50E21rocsparse_complex_numIdEliS1_IfES2_S2_EEvT2_20rocsparse_direction_NS_24const_host_device_scalarIT0_EES4_PKS4_PKT1_SD_SA_PKT3_PKT4_S8_PT5_21rocsparse_index_base_b
; %bb.0:
	s_mov_b32 s12, s15
	s_load_b64 s[14:15], s[2:3], 0x68
	s_load_b64 s[16:17], s[0:1], 0x4
	s_load_b128 s[8:11], s[2:3], 0x8
	v_bfe_u32 v1, v0, 10, 10
	s_mov_b64 s[0:1], src_shared_base
	s_load_b128 s[4:7], s[2:3], 0x50
	v_and_b32_e32 v4, 0x3ff, v0
	v_bfe_u32 v0, v0, 20, 10
	s_waitcnt lgkmcnt(0)
	s_bitcmp1_b32 s15, 0
	v_mul_u32_u24_e32 v1, s17, v1
	s_cselect_b32 s0, -1, 0
	v_mov_b32_e32 v12, s11
	s_and_b32 vcc_lo, s0, exec_lo
	s_cselect_b32 s13, s1, s9
	s_lshr_b32 s15, s16, 16
	v_dual_mov_b32 v2, s4 :: v_dual_mov_b32 v3, s5
	s_mul_i32 s15, s15, s17
	v_dual_mov_b32 v6, s13 :: v_dual_mov_b32 v11, s10
	v_mad_u32_u24 v1, s15, v4, v1
	s_xor_b32 s10, s0, -1
	s_delay_alu instid0(VALU_DEP_1) | instskip(SKIP_1) | instid1(VALU_DEP_2)
	v_add_lshl_u32 v7, v1, v0, 3
	v_dual_mov_b32 v0, s8 :: v_dual_mov_b32 v1, s9
	v_add_nc_u32_e32 v5, 0x4b0, v7
	ds_store_2addr_b64 v7, v[2:3], v[0:1] offset0:100 offset1:150
	v_add_nc_u32_e32 v0, 0x320, v7
	v_cndmask_b32_e64 v5, s8, v5, s0
	flat_load_b64 v[9:10], v[5:6]
	s_cbranch_vccnz .LBB40_2
; %bb.1:
	v_dual_mov_b32 v1, s8 :: v_dual_mov_b32 v2, s9
	flat_load_b64 v[11:12], v[1:2] offset:8
.LBB40_2:
	s_and_b32 s8, s0, exec_lo
	s_cselect_b32 s1, s1, s5
	v_cndmask_b32_e64 v0, s4, v0, s0
	v_dual_mov_b32 v1, s1 :: v_dual_mov_b32 v8, s7
	v_mov_b32_e32 v7, s6
	s_and_not1_b32 vcc_lo, exec_lo, s10
	flat_load_b64 v[5:6], v[0:1]
	s_cbranch_vccnz .LBB40_4
; %bb.3:
	v_dual_mov_b32 v0, s4 :: v_dual_mov_b32 v1, s5
	flat_load_b64 v[7:8], v[0:1] offset:8
.LBB40_4:
	s_waitcnt vmcnt(1) lgkmcnt(1)
	v_cmp_eq_f64_e32 vcc_lo, 0, v[9:10]
	v_cmp_eq_f64_e64 s0, 0, v[11:12]
	s_delay_alu instid0(VALU_DEP_1)
	s_and_b32 s4, vcc_lo, s0
	s_mov_b32 s0, -1
	s_and_saveexec_b32 s1, s4
	s_cbranch_execz .LBB40_6
; %bb.5:
	s_waitcnt vmcnt(0) lgkmcnt(0)
	v_cmp_neq_f64_e32 vcc_lo, 1.0, v[5:6]
	v_cmp_neq_f64_e64 s0, 0, v[7:8]
	s_delay_alu instid0(VALU_DEP_1) | instskip(NEXT) | instid1(SALU_CYCLE_1)
	s_or_b32 s0, vcc_lo, s0
	s_or_not1_b32 s0, s0, exec_lo
.LBB40_6:
	s_or_b32 exec_lo, exec_lo, s1
	s_and_saveexec_b32 s1, s0
	s_cbranch_execz .LBB40_39
; %bb.7:
	s_clause 0x1
	s_load_b128 s[4:7], s[2:3], 0x20
	s_load_b64 s[8:9], s[2:3], 0x30
	s_waitcnt lgkmcnt(0)
	s_cmp_eq_u64 s[4:5], 0
	s_cbranch_scc1 .LBB40_9
; %bb.8:
	s_ashr_i32 s13, s12, 31
	s_delay_alu instid0(SALU_CYCLE_1) | instskip(NEXT) | instid1(SALU_CYCLE_1)
	s_lshl_b64 s[0:1], s[12:13], 2
	s_add_u32 s0, s4, s0
	s_addc_u32 s1, s5, s1
	s_load_b32 s0, s[0:1], 0x0
	s_waitcnt lgkmcnt(0)
	s_sub_i32 s12, s0, s14
.LBB40_9:
	s_load_b32 s1, s[2:3], 0x4
	v_mul_u32_u24_e32 v0, 0x3334, v4
	v_mov_b32_e32 v2, 0
	v_mov_b32_e32 v3, 0
	s_delay_alu instid0(VALU_DEP_3) | instskip(NEXT) | instid1(VALU_DEP_1)
	v_lshrrev_b32_e32 v13, 16, v0
	v_mul_lo_u16 v0, v13, 5
	s_delay_alu instid0(VALU_DEP_1) | instskip(NEXT) | instid1(VALU_DEP_4)
	v_sub_nc_u16 v18, v4, v0
	v_dual_mov_b32 v0, v2 :: v_dual_mov_b32 v1, v3
	s_waitcnt lgkmcnt(0)
	s_cmp_eq_u32 s1, 1
	s_cselect_b32 s0, -1, 0
	s_cmp_lg_u32 s1, 1
	s_cselect_b32 s15, -1, 0
	s_ashr_i32 s13, s12, 31
	s_delay_alu instid0(SALU_CYCLE_1) | instskip(NEXT) | instid1(SALU_CYCLE_1)
	s_lshl_b64 s[4:5], s[12:13], 3
	s_add_u32 s6, s6, s4
	s_addc_u32 s7, s7, s5
	s_add_u32 s1, s6, 8
	s_addc_u32 s10, s7, 0
	s_add_u32 s4, s8, s4
	s_addc_u32 s5, s9, s5
	s_cmp_eq_u64 s[8:9], 0
	s_cselect_b32 s5, s10, s5
	s_cselect_b32 s4, s1, s4
	s_load_b64 s[8:9], s[6:7], 0x0
	s_load_b64 s[10:11], s[4:5], 0x0
	;; [unrolled: 1-line block ×3, first 2 shown]
	s_waitcnt lgkmcnt(0)
	v_cmp_ge_i64_e64 s1, s[8:9], s[10:11]
	s_delay_alu instid0(VALU_DEP_1)
	s_and_b32 vcc_lo, exec_lo, s1
	s_cbranch_vccnz .LBB40_14
; %bb.10:
	v_dual_mov_b32 v1, 0 :: v_dual_lshlrev_b32 v0, 3, v4
	v_mul_lo_u16 v14, v13, 52
	s_clause 0x1
	s_load_b64 s[6:7], s[2:3], 0x48
	s_load_b128 s[16:19], s[2:3], 0x38
	s_sub_u32 s2, s10, s14
	s_mul_i32 s3, s14, 0xc8
	v_mad_u64_u32 v[2:3], null, 0xc8, s8, v[0:1]
	v_and_b32_e32 v15, 0xffff, v4
	v_lshrrev_b16 v0, 8, v14
	s_mul_hi_u32 s1, s14, 0xc8
	s_delay_alu instid0(VALU_DEP_1) | instskip(NEXT) | instid1(VALU_DEP_4)
	v_mul_lo_u16 v14, v0, 5
	v_mov_b32_e32 v0, v3
	v_mul_u32_u24_e32 v1, 0xa3e, v15
	v_and_b32_e32 v3, 0xffff, v18
	v_sub_co_u32 v2, vcc_lo, v2, s3
	s_subb_u32 s3, s11, 0
	s_delay_alu instid0(VALU_DEP_3) | instskip(SKIP_1) | instid1(VALU_DEP_1)
	v_lshrrev_b32_e32 v19, 16, v1
	v_sub_nc_u16 v1, v13, v14
	v_mad_u64_u32 v[13:14], null, 0xc8, s9, v[0:1]
	v_and_b32_e32 v0, 0xff, v1
	s_delay_alu instid0(VALU_DEP_4) | instskip(NEXT) | instid1(VALU_DEP_1)
	v_add_co_u32 v1, s10, s8, v19
	v_add_co_ci_u32_e64 v14, null, s9, 0, s10
	s_delay_alu instid0(VALU_DEP_4) | instskip(NEXT) | instid1(VALU_DEP_4)
	v_mov_b32_e32 v15, v13
	v_cndmask_b32_e64 v13, v3, v0, s0
	s_sub_u32 s0, s8, s14
	s_delay_alu instid0(VALU_DEP_2)
	v_subrev_co_ci_u32_e32 v3, vcc_lo, s1, v15, vcc_lo
	v_sub_co_u32 v0, vcc_lo, v1, s14
	v_subrev_co_ci_u32_e32 v1, vcc_lo, 0, v14, vcc_lo
	s_waitcnt lgkmcnt(0)
	v_add_co_u32 v14, vcc_lo, s18, v2
	v_add_co_ci_u32_e32 v15, vcc_lo, s19, v3, vcc_lo
	s_delay_alu instid0(VALU_DEP_3)
	v_lshlrev_b64 v[0:1], 2, v[0:1]
	v_mov_b32_e32 v2, 0
	v_mov_b32_e32 v3, 0
	v_add_co_u32 v14, vcc_lo, v14, 4
	v_add_co_ci_u32_e32 v15, vcc_lo, 0, v15, vcc_lo
	v_add_co_u32 v16, vcc_lo, s16, v0
	v_add_co_ci_u32_e32 v17, vcc_lo, s17, v1, vcc_lo
	v_dual_mov_b32 v0, v2 :: v_dual_mov_b32 v1, v3
	s_subb_u32 s1, s9, 0
	s_set_inst_prefetch_distance 0x1
	s_branch .LBB40_12
	.p2align	6
.LBB40_11:                              ;   in Loop: Header=BB40_12 Depth=1
	s_or_b32 exec_lo, exec_lo, s8
	s_add_u32 s0, s0, 2
	s_addc_u32 s1, s1, 0
	v_add_co_u32 v14, vcc_lo, 0x190, v14
	v_cmp_ge_i64_e64 s8, s[0:1], s[2:3]
	v_add_co_ci_u32_e32 v15, vcc_lo, 0, v15, vcc_lo
	v_add_co_u32 v16, vcc_lo, v16, 8
	v_add_co_ci_u32_e32 v17, vcc_lo, 0, v17, vcc_lo
	s_delay_alu instid0(VALU_DEP_4)
	s_and_b32 vcc_lo, exec_lo, s8
	s_cbranch_vccnz .LBB40_14
.LBB40_12:                              ; =>This Inner Loop Header: Depth=1
	v_add_co_u32 v20, s8, v19, s0
	s_delay_alu instid0(VALU_DEP_1) | instskip(SKIP_1) | instid1(VALU_DEP_1)
	v_add_co_ci_u32_e64 v21, null, 0, s1, s8
	s_mov_b32 s8, exec_lo
	v_cmpx_gt_i64_e64 s[2:3], v[20:21]
	s_cbranch_execz .LBB40_11
; %bb.13:                               ;   in Loop: Header=BB40_12 Depth=1
	global_load_b32 v20, v[16:17], off
	global_load_b64 v[24:25], v[14:15], off offset:-4
	s_waitcnt vmcnt(1)
	v_subrev_nc_u32_e32 v22, s14, v20
	s_waitcnt vmcnt(0)
	v_cvt_f64_f32_e32 v[26:27], v24
	v_cvt_f64_f32_e32 v[24:25], v25
	s_delay_alu instid0(VALU_DEP_3) | instskip(NEXT) | instid1(VALU_DEP_1)
	v_mad_u64_u32 v[20:21], null, v22, 5, v[13:14]
	v_ashrrev_i32_e32 v21, 31, v20
	s_delay_alu instid0(VALU_DEP_1) | instskip(NEXT) | instid1(VALU_DEP_1)
	v_lshlrev_b64 v[20:21], 4, v[20:21]
	v_add_co_u32 v20, vcc_lo, s6, v20
	s_delay_alu instid0(VALU_DEP_2) | instskip(SKIP_4) | instid1(VALU_DEP_2)
	v_add_co_ci_u32_e32 v21, vcc_lo, s7, v21, vcc_lo
	global_load_b128 v[20:23], v[20:21], off
	s_waitcnt vmcnt(0)
	v_fma_f64 v[0:1], v[26:27], v[20:21], v[0:1]
	v_fma_f64 v[2:3], v[24:25], v[20:21], v[2:3]
	v_fma_f64 v[0:1], -v[24:25], v[22:23], v[0:1]
	s_delay_alu instid0(VALU_DEP_2)
	v_fma_f64 v[2:3], v[26:27], v[22:23], v[2:3]
	s_branch .LBB40_11
.LBB40_14:
	s_set_inst_prefetch_distance 0x2
	v_lshlrev_b32_e32 v17, 4, v4
	s_and_b32 vcc_lo, exec_lo, s15
	ds_store_b128 v17, v[0:3]
	s_waitcnt vmcnt(0) lgkmcnt(0)
	buffer_gl0_inv
	s_cbranch_vccz .LBB40_24
; %bb.15:
	s_mov_b32 s0, exec_lo
	v_cmpx_gt_u32_e32 25, v4
	s_cbranch_execz .LBB40_17
; %bb.16:
	ds_load_b128 v[13:16], v17 offset:400
	ds_load_b128 v[19:22], v17
	s_waitcnt lgkmcnt(0)
	v_add_f64 v[13:14], v[13:14], v[19:20]
	v_add_f64 v[15:16], v[15:16], v[21:22]
	ds_store_b128 v17, v[13:16]
.LBB40_17:
	s_or_b32 exec_lo, exec_lo, s0
	s_delay_alu instid0(SALU_CYCLE_1)
	s_mov_b32 s0, exec_lo
	s_waitcnt lgkmcnt(0)
	buffer_gl0_inv
	v_cmpx_eq_u16_e32 0, v18
	s_cbranch_execz .LBB40_19
; %bb.18:
	ds_load_b128 v[13:16], v17 offset:64
	ds_load_b128 v[19:22], v17
	s_waitcnt lgkmcnt(0)
	v_add_f64 v[13:14], v[13:14], v[19:20]
	v_add_f64 v[15:16], v[15:16], v[21:22]
	ds_store_b128 v17, v[13:16]
.LBB40_19:
	s_or_b32 exec_lo, exec_lo, s0
	s_delay_alu instid0(SALU_CYCLE_1)
	s_mov_b32 s0, exec_lo
	s_waitcnt lgkmcnt(0)
	buffer_gl0_inv
	v_cmpx_gt_u16_e32 2, v18
	s_cbranch_execz .LBB40_21
; %bb.20:
	ds_load_b128 v[13:16], v17
	ds_load_b128 v[18:21], v17 offset:32
	s_waitcnt lgkmcnt(0)
	v_add_f64 v[13:14], v[18:19], v[13:14]
	v_add_f64 v[15:16], v[20:21], v[15:16]
	ds_store_b128 v17, v[13:16]
.LBB40_21:
	s_or_b32 exec_lo, exec_lo, s0
	v_dual_mov_b32 v16, v3 :: v_dual_mov_b32 v15, v2
	v_dual_mov_b32 v14, v1 :: v_dual_mov_b32 v13, v0
	s_mov_b32 s0, exec_lo
	s_waitcnt lgkmcnt(0)
	buffer_gl0_inv
	v_cmpx_gt_u32_e32 5, v4
	s_cbranch_execz .LBB40_23
; %bb.22:
	v_lshl_add_u32 v18, v4, 6, v17
	ds_load_b128 v[13:16], v18
	ds_load_b128 v[18:21], v18 offset:16
	s_waitcnt lgkmcnt(0)
	v_add_f64 v[13:14], v[18:19], v[13:14]
	v_add_f64 v[15:16], v[20:21], v[15:16]
.LBB40_23:
	s_or_b32 exec_lo, exec_lo, s0
	s_branch .LBB40_34
.LBB40_24:
                                        ; implicit-def: $vgpr15_vgpr16
                                        ; implicit-def: $vgpr13_vgpr14
	s_cbranch_execz .LBB40_34
; %bb.25:
	v_cmp_gt_u32_e32 vcc_lo, 10, v4
	s_and_saveexec_b32 s0, vcc_lo
	s_cbranch_execz .LBB40_27
; %bb.26:
	ds_load_b128 v[13:16], v17 offset:640
	ds_load_b128 v[18:21], v17
	s_waitcnt lgkmcnt(0)
	v_add_f64 v[13:14], v[13:14], v[18:19]
	v_add_f64 v[15:16], v[15:16], v[20:21]
	ds_store_b128 v17, v[13:16]
.LBB40_27:
	s_or_b32 exec_lo, exec_lo, s0
	s_delay_alu instid0(SALU_CYCLE_1)
	s_mov_b32 s1, exec_lo
	s_waitcnt lgkmcnt(0)
	buffer_gl0_inv
	v_cmpx_gt_u32_e32 20, v4
	s_cbranch_execz .LBB40_29
; %bb.28:
	ds_load_b128 v[13:16], v17 offset:320
	ds_load_b128 v[18:21], v17
	s_waitcnt lgkmcnt(0)
	v_add_f64 v[13:14], v[13:14], v[18:19]
	v_add_f64 v[15:16], v[15:16], v[20:21]
	ds_store_b128 v17, v[13:16]
.LBB40_29:
	s_or_b32 exec_lo, exec_lo, s1
	s_waitcnt lgkmcnt(0)
	buffer_gl0_inv
	s_and_saveexec_b32 s0, vcc_lo
	s_cbranch_execz .LBB40_31
; %bb.30:
	ds_load_b128 v[13:16], v17 offset:160
	ds_load_b128 v[18:21], v17
	s_waitcnt lgkmcnt(0)
	v_add_f64 v[13:14], v[13:14], v[18:19]
	v_add_f64 v[15:16], v[15:16], v[20:21]
	ds_store_b128 v17, v[13:16]
.LBB40_31:
	s_or_b32 exec_lo, exec_lo, s0
	s_delay_alu instid0(SALU_CYCLE_1)
	s_mov_b32 s0, exec_lo
	s_waitcnt lgkmcnt(0)
	buffer_gl0_inv
	v_cmpx_gt_u32_e32 5, v4
	s_cbranch_execz .LBB40_33
; %bb.32:
	ds_load_b128 v[0:3], v17 offset:80
	ds_load_b128 v[13:16], v17
	s_waitcnt lgkmcnt(0)
	v_add_f64 v[0:1], v[0:1], v[13:14]
	v_add_f64 v[2:3], v[2:3], v[15:16]
.LBB40_33:
	s_or_b32 exec_lo, exec_lo, s0
	s_delay_alu instid0(VALU_DEP_1) | instskip(NEXT) | instid1(VALU_DEP_3)
	v_dual_mov_b32 v16, v3 :: v_dual_mov_b32 v15, v2
	v_dual_mov_b32 v14, v1 :: v_dual_mov_b32 v13, v0
.LBB40_34:
	v_cmp_gt_u32_e32 vcc_lo, 5, v4
	s_and_b32 exec_lo, exec_lo, vcc_lo
	s_cbranch_execz .LBB40_39
; %bb.35:
	s_delay_alu instid0(VALU_DEP_2) | instskip(SKIP_3) | instid1(VALU_DEP_4)
	v_mul_f64 v[0:1], v[15:16], -v[11:12]
	v_mul_f64 v[2:3], v[9:10], v[15:16]
	v_cmp_eq_f64_e32 vcc_lo, 0, v[5:6]
	v_cmp_eq_f64_e64 s0, 0, v[7:8]
	v_fma_f64 v[0:1], v[9:10], v[13:14], v[0:1]
	s_delay_alu instid0(VALU_DEP_4) | instskip(NEXT) | instid1(VALU_DEP_3)
	v_fma_f64 v[2:3], v[11:12], v[13:14], v[2:3]
	s_and_b32 s0, vcc_lo, s0
	s_delay_alu instid0(SALU_CYCLE_1) | instskip(NEXT) | instid1(SALU_CYCLE_1)
	s_and_saveexec_b32 s1, s0
	s_xor_b32 s0, exec_lo, s1
	s_cbranch_execz .LBB40_37
; %bb.36:
	v_mad_u64_u32 v[5:6], null, s12, 5, v[4:5]
	v_mov_b32_e32 v6, 0
                                        ; implicit-def: $vgpr7_vgpr8
	s_delay_alu instid0(VALU_DEP_1) | instskip(NEXT) | instid1(VALU_DEP_1)
	v_lshlrev_b64 v[4:5], 4, v[5:6]
	v_add_co_u32 v4, vcc_lo, s4, v4
	s_delay_alu instid0(VALU_DEP_2)
	v_add_co_ci_u32_e32 v5, vcc_lo, s5, v5, vcc_lo
	global_store_b128 v[4:5], v[0:3], off
                                        ; implicit-def: $vgpr4
                                        ; implicit-def: $vgpr5_vgpr6
                                        ; implicit-def: $vgpr0_vgpr1
.LBB40_37:
	s_and_not1_saveexec_b32 s0, s0
	s_cbranch_execz .LBB40_39
; %bb.38:
	v_mad_u64_u32 v[9:10], null, s12, 5, v[4:5]
	v_mov_b32_e32 v10, 0
	s_delay_alu instid0(VALU_DEP_1) | instskip(NEXT) | instid1(VALU_DEP_1)
	v_lshlrev_b64 v[9:10], 4, v[9:10]
	v_add_co_u32 v13, vcc_lo, s4, v9
	s_delay_alu instid0(VALU_DEP_2) | instskip(SKIP_4) | instid1(VALU_DEP_2)
	v_add_co_ci_u32_e32 v14, vcc_lo, s5, v10, vcc_lo
	global_load_b128 v[9:12], v[13:14], off
	s_waitcnt vmcnt(0)
	v_fma_f64 v[0:1], v[5:6], v[9:10], v[0:1]
	v_fma_f64 v[2:3], v[7:8], v[9:10], v[2:3]
	v_fma_f64 v[0:1], -v[7:8], v[11:12], v[0:1]
	s_delay_alu instid0(VALU_DEP_2)
	v_fma_f64 v[2:3], v[5:6], v[11:12], v[2:3]
	global_store_b128 v[13:14], v[0:3], off
.LBB40_39:
	s_nop 0
	s_sendmsg sendmsg(MSG_DEALLOC_VGPRS)
	s_endpgm
	.section	.rodata,"a",@progbits
	.p2align	6, 0x0
	.amdhsa_kernel _ZN9rocsparseL18bsrxmvn_5x5_kernelILj50E21rocsparse_complex_numIdEliS1_IfES2_S2_EEvT2_20rocsparse_direction_NS_24const_host_device_scalarIT0_EES4_PKS4_PKT1_SD_SA_PKT3_PKT4_S8_PT5_21rocsparse_index_base_b
		.amdhsa_group_segment_fixed_size 1600
		.amdhsa_private_segment_fixed_size 0
		.amdhsa_kernarg_size 112
		.amdhsa_user_sgpr_count 15
		.amdhsa_user_sgpr_dispatch_ptr 1
		.amdhsa_user_sgpr_queue_ptr 0
		.amdhsa_user_sgpr_kernarg_segment_ptr 1
		.amdhsa_user_sgpr_dispatch_id 0
		.amdhsa_user_sgpr_private_segment_size 0
		.amdhsa_wavefront_size32 1
		.amdhsa_uses_dynamic_stack 0
		.amdhsa_enable_private_segment 0
		.amdhsa_system_sgpr_workgroup_id_x 1
		.amdhsa_system_sgpr_workgroup_id_y 0
		.amdhsa_system_sgpr_workgroup_id_z 0
		.amdhsa_system_sgpr_workgroup_info 0
		.amdhsa_system_vgpr_workitem_id 2
		.amdhsa_next_free_vgpr 28
		.amdhsa_next_free_sgpr 20
		.amdhsa_reserve_vcc 1
		.amdhsa_float_round_mode_32 0
		.amdhsa_float_round_mode_16_64 0
		.amdhsa_float_denorm_mode_32 3
		.amdhsa_float_denorm_mode_16_64 3
		.amdhsa_dx10_clamp 1
		.amdhsa_ieee_mode 1
		.amdhsa_fp16_overflow 0
		.amdhsa_workgroup_processor_mode 1
		.amdhsa_memory_ordered 1
		.amdhsa_forward_progress 0
		.amdhsa_shared_vgpr_count 0
		.amdhsa_exception_fp_ieee_invalid_op 0
		.amdhsa_exception_fp_denorm_src 0
		.amdhsa_exception_fp_ieee_div_zero 0
		.amdhsa_exception_fp_ieee_overflow 0
		.amdhsa_exception_fp_ieee_underflow 0
		.amdhsa_exception_fp_ieee_inexact 0
		.amdhsa_exception_int_div_zero 0
	.end_amdhsa_kernel
	.section	.text._ZN9rocsparseL18bsrxmvn_5x5_kernelILj50E21rocsparse_complex_numIdEliS1_IfES2_S2_EEvT2_20rocsparse_direction_NS_24const_host_device_scalarIT0_EES4_PKS4_PKT1_SD_SA_PKT3_PKT4_S8_PT5_21rocsparse_index_base_b,"axG",@progbits,_ZN9rocsparseL18bsrxmvn_5x5_kernelILj50E21rocsparse_complex_numIdEliS1_IfES2_S2_EEvT2_20rocsparse_direction_NS_24const_host_device_scalarIT0_EES4_PKS4_PKT1_SD_SA_PKT3_PKT4_S8_PT5_21rocsparse_index_base_b,comdat
.Lfunc_end40:
	.size	_ZN9rocsparseL18bsrxmvn_5x5_kernelILj50E21rocsparse_complex_numIdEliS1_IfES2_S2_EEvT2_20rocsparse_direction_NS_24const_host_device_scalarIT0_EES4_PKS4_PKT1_SD_SA_PKT3_PKT4_S8_PT5_21rocsparse_index_base_b, .Lfunc_end40-_ZN9rocsparseL18bsrxmvn_5x5_kernelILj50E21rocsparse_complex_numIdEliS1_IfES2_S2_EEvT2_20rocsparse_direction_NS_24const_host_device_scalarIT0_EES4_PKS4_PKT1_SD_SA_PKT3_PKT4_S8_PT5_21rocsparse_index_base_b
                                        ; -- End function
	.section	.AMDGPU.csdata,"",@progbits
; Kernel info:
; codeLenInByte = 2004
; NumSgprs: 22
; NumVgprs: 28
; ScratchSize: 0
; MemoryBound: 0
; FloatMode: 240
; IeeeMode: 1
; LDSByteSize: 1600 bytes/workgroup (compile time only)
; SGPRBlocks: 2
; VGPRBlocks: 3
; NumSGPRsForWavesPerEU: 22
; NumVGPRsForWavesPerEU: 28
; Occupancy: 16
; WaveLimiterHint : 1
; COMPUTE_PGM_RSRC2:SCRATCH_EN: 0
; COMPUTE_PGM_RSRC2:USER_SGPR: 15
; COMPUTE_PGM_RSRC2:TRAP_HANDLER: 0
; COMPUTE_PGM_RSRC2:TGID_X_EN: 1
; COMPUTE_PGM_RSRC2:TGID_Y_EN: 0
; COMPUTE_PGM_RSRC2:TGID_Z_EN: 0
; COMPUTE_PGM_RSRC2:TIDIG_COMP_CNT: 2
	.section	.text._ZN9rocsparseL18bsrxmvn_5x5_kernelILj50E21rocsparse_complex_numIdEllS1_IfES2_S2_EEvT2_20rocsparse_direction_NS_24const_host_device_scalarIT0_EES4_PKS4_PKT1_SD_SA_PKT3_PKT4_S8_PT5_21rocsparse_index_base_b,"axG",@progbits,_ZN9rocsparseL18bsrxmvn_5x5_kernelILj50E21rocsparse_complex_numIdEllS1_IfES2_S2_EEvT2_20rocsparse_direction_NS_24const_host_device_scalarIT0_EES4_PKS4_PKT1_SD_SA_PKT3_PKT4_S8_PT5_21rocsparse_index_base_b,comdat
	.globl	_ZN9rocsparseL18bsrxmvn_5x5_kernelILj50E21rocsparse_complex_numIdEllS1_IfES2_S2_EEvT2_20rocsparse_direction_NS_24const_host_device_scalarIT0_EES4_PKS4_PKT1_SD_SA_PKT3_PKT4_S8_PT5_21rocsparse_index_base_b ; -- Begin function _ZN9rocsparseL18bsrxmvn_5x5_kernelILj50E21rocsparse_complex_numIdEllS1_IfES2_S2_EEvT2_20rocsparse_direction_NS_24const_host_device_scalarIT0_EES4_PKS4_PKT1_SD_SA_PKT3_PKT4_S8_PT5_21rocsparse_index_base_b
	.p2align	8
	.type	_ZN9rocsparseL18bsrxmvn_5x5_kernelILj50E21rocsparse_complex_numIdEllS1_IfES2_S2_EEvT2_20rocsparse_direction_NS_24const_host_device_scalarIT0_EES4_PKS4_PKT1_SD_SA_PKT3_PKT4_S8_PT5_21rocsparse_index_base_b,@function
_ZN9rocsparseL18bsrxmvn_5x5_kernelILj50E21rocsparse_complex_numIdEllS1_IfES2_S2_EEvT2_20rocsparse_direction_NS_24const_host_device_scalarIT0_EES4_PKS4_PKT1_SD_SA_PKT3_PKT4_S8_PT5_21rocsparse_index_base_b: ; @_ZN9rocsparseL18bsrxmvn_5x5_kernelILj50E21rocsparse_complex_numIdEllS1_IfES2_S2_EEvT2_20rocsparse_direction_NS_24const_host_device_scalarIT0_EES4_PKS4_PKT1_SD_SA_PKT3_PKT4_S8_PT5_21rocsparse_index_base_b
; %bb.0:
	s_mov_b32 s12, s15
	s_load_b64 s[14:15], s[2:3], 0x70
	s_load_b64 s[16:17], s[0:1], 0x4
	s_load_b128 s[8:11], s[2:3], 0x10
	v_bfe_u32 v1, v0, 10, 10
	s_mov_b64 s[0:1], src_shared_base
	s_load_b128 s[4:7], s[2:3], 0x58
	v_and_b32_e32 v6, 0x3ff, v0
	v_bfe_u32 v0, v0, 20, 10
	s_waitcnt lgkmcnt(0)
	s_bitcmp1_b32 s15, 0
	v_mul_u32_u24_e32 v1, s17, v1
	s_cselect_b32 s0, -1, 0
	v_mov_b32_e32 v13, s11
	s_and_b32 vcc_lo, s0, exec_lo
	s_cselect_b32 s13, s1, s9
	s_lshr_b32 s15, s16, 16
	v_mov_b32_e32 v2, s4
	s_mul_i32 s15, s15, s17
	v_mov_b32_e32 v12, s10
	v_mad_u32_u24 v1, s15, v6, v1
	s_xor_b32 s10, s0, -1
	v_mov_b32_e32 v5, s13
	v_mov_b32_e32 v3, s5
	s_delay_alu instid0(VALU_DEP_3) | instskip(SKIP_1) | instid1(VALU_DEP_2)
	v_add_lshl_u32 v7, v1, v0, 3
	v_dual_mov_b32 v0, s8 :: v_dual_mov_b32 v1, s9
	v_add_nc_u32_e32 v4, 0x4b0, v7
	ds_store_2addr_b64 v7, v[2:3], v[0:1] offset0:100 offset1:150
	v_add_nc_u32_e32 v0, 0x320, v7
	v_cndmask_b32_e64 v4, s8, v4, s0
	flat_load_b64 v[10:11], v[4:5]
	s_cbranch_vccnz .LBB41_2
; %bb.1:
	v_dual_mov_b32 v1, s8 :: v_dual_mov_b32 v2, s9
	flat_load_b64 v[12:13], v[1:2] offset:8
.LBB41_2:
	s_and_b32 s8, s0, exec_lo
	s_cselect_b32 s1, s1, s5
	v_cndmask_b32_e64 v0, s4, v0, s0
	v_mov_b32_e32 v1, s1
	v_dual_mov_b32 v9, s7 :: v_dual_mov_b32 v8, s6
	s_and_not1_b32 vcc_lo, exec_lo, s10
	flat_load_b64 v[4:5], v[0:1]
	s_cbranch_vccnz .LBB41_4
; %bb.3:
	v_dual_mov_b32 v0, s4 :: v_dual_mov_b32 v1, s5
	flat_load_b64 v[8:9], v[0:1] offset:8
.LBB41_4:
	s_waitcnt vmcnt(1) lgkmcnt(1)
	v_cmp_eq_f64_e32 vcc_lo, 0, v[10:11]
	v_cmp_eq_f64_e64 s0, 0, v[12:13]
	s_delay_alu instid0(VALU_DEP_1)
	s_and_b32 s4, vcc_lo, s0
	s_mov_b32 s0, -1
	s_and_saveexec_b32 s1, s4
	s_cbranch_execz .LBB41_6
; %bb.5:
	s_waitcnt vmcnt(0) lgkmcnt(0)
	v_cmp_neq_f64_e32 vcc_lo, 1.0, v[4:5]
	v_cmp_neq_f64_e64 s0, 0, v[8:9]
	s_delay_alu instid0(VALU_DEP_1) | instskip(NEXT) | instid1(SALU_CYCLE_1)
	s_or_b32 s0, vcc_lo, s0
	s_or_not1_b32 s0, s0, exec_lo
.LBB41_6:
	s_or_b32 exec_lo, exec_lo, s1
	s_and_saveexec_b32 s1, s0
	s_cbranch_execz .LBB41_42
; %bb.7:
	s_clause 0x1
	s_load_b128 s[4:7], s[2:3], 0x28
	s_load_b64 s[8:9], s[2:3], 0x38
	s_mov_b32 s13, 0
	s_waitcnt lgkmcnt(0)
	s_cmp_eq_u64 s[4:5], 0
	s_cbranch_scc1 .LBB41_9
; %bb.8:
	s_lshl_b64 s[0:1], s[12:13], 3
	s_delay_alu instid0(SALU_CYCLE_1)
	s_add_u32 s0, s4, s0
	s_addc_u32 s1, s5, s1
	s_load_b64 s[0:1], s[0:1], 0x0
	s_waitcnt lgkmcnt(0)
	s_sub_u32 s12, s0, s14
	s_subb_u32 s13, s1, 0
.LBB41_9:
	s_load_b32 s1, s[2:3], 0x8
	v_mul_u32_u24_e32 v0, 0x3334, v6
	s_delay_alu instid0(VALU_DEP_1) | instskip(NEXT) | instid1(VALU_DEP_1)
	v_lshrrev_b32_e32 v14, 16, v0
	v_mul_lo_u16 v0, v14, 5
	s_waitcnt lgkmcnt(0)
	s_cmp_eq_u32 s1, 1
	s_cselect_b32 s0, -1, 0
	s_cmp_lg_u32 s1, 1
	s_cselect_b32 s15, -1, 0
	s_lshl_b64 s[4:5], s[12:13], 3
	s_delay_alu instid0(SALU_CYCLE_1)
	s_add_u32 s6, s6, s4
	s_addc_u32 s7, s7, s5
	s_add_u32 s1, s6, 8
	s_addc_u32 s10, s7, 0
	;; [unrolled: 2-line block ×3, first 2 shown]
	s_cmp_eq_u64 s[8:9], 0
	s_cselect_b32 s5, s10, s5
	s_cselect_b32 s4, s1, s4
	s_load_b64 s[6:7], s[6:7], 0x0
	s_load_b64 s[8:9], s[4:5], 0x0
	s_waitcnt lgkmcnt(0)
	v_cmp_lt_i64_e64 s1, s[6:7], s[8:9]
	s_delay_alu instid0(VALU_DEP_1)
	s_and_b32 vcc_lo, exec_lo, s1
	s_cbranch_vccnz .LBB41_11
; %bb.10:
	v_mov_b32_e32 v7, 0
	s_mov_b32 s1, 0
	s_mov_b64 s[10:11], 0
	s_branch .LBB41_12
.LBB41_11:
	s_mov_b32 s1, -1
                                        ; implicit-def: $sgpr10_sgpr11
.LBB41_12:
	s_load_b64 s[4:5], s[2:3], 0x68
	v_dual_mov_b32 v2, s10 :: v_dual_mov_b32 v3, s11
	v_sub_nc_u16 v20, v6, v0
	v_dual_mov_b32 v0, s10 :: v_dual_mov_b32 v1, s11
	s_and_not1_b32 vcc_lo, exec_lo, s1
	s_cbranch_vccnz .LBB41_17
; %bb.13:
	v_mul_lo_u16 v0, v14, 52
	v_mov_b32_e32 v7, 0
	s_clause 0x1
	s_load_b64 s[10:11], s[2:3], 0x50
	s_load_b128 s[16:19], s[2:3], 0x40
	s_mul_i32 s1, s14, 0xc8
	v_lshrrev_b16 v2, 8, v0
	v_dual_mov_b32 v1, v7 :: v_dual_lshlrev_b32 v0, 3, v6
	v_and_b32_e32 v16, 0xffff, v6
	s_sub_u32 s2, s8, s14
	s_delay_alu instid0(VALU_DEP_3) | instskip(NEXT) | instid1(VALU_DEP_3)
	v_mul_lo_u16 v15, v2, 5
	v_mad_u64_u32 v[2:3], null, 0xc8, s6, v[0:1]
	v_and_b32_e32 v1, 0xffff, v20
	s_delay_alu instid0(VALU_DEP_3) | instskip(SKIP_1) | instid1(VALU_DEP_4)
	v_sub_nc_u16 v0, v14, v15
	v_mul_u32_u24_e32 v14, 0xa3e, v16
	v_sub_co_u32 v2, vcc_lo, v2, s1
	s_delay_alu instid0(VALU_DEP_3) | instskip(NEXT) | instid1(VALU_DEP_3)
	v_dual_mov_b32 v0, v3 :: v_dual_and_b32 v15, 0xff, v0
	v_lshrrev_b32_e32 v21, 16, v14
	s_delay_alu instid0(VALU_DEP_2) | instskip(SKIP_1) | instid1(VALU_DEP_1)
	v_cndmask_b32_e64 v1, v1, v15, s0
	s_mul_hi_u32 s0, s14, 0xc8
	v_mad_u64_u32 v[14:15], null, 0xc8, s7, v[0:1]
	v_lshlrev_b32_e32 v0, 4, v1
	v_add_co_u32 v1, s3, s6, v21
	s_delay_alu instid0(VALU_DEP_1) | instskip(NEXT) | instid1(VALU_DEP_4)
	v_add_co_ci_u32_e64 v3, null, s7, 0, s3
	v_mov_b32_e32 v16, v14
	s_waitcnt lgkmcnt(0)
	v_add_co_u32 v14, s3, s10, v0
	s_delay_alu instid0(VALU_DEP_1) | instskip(NEXT) | instid1(VALU_DEP_3)
	v_add_co_ci_u32_e64 v15, null, s11, 0, s3
	v_subrev_co_ci_u32_e32 v16, vcc_lo, s0, v16, vcc_lo
	v_sub_co_u32 v0, vcc_lo, v1, s14
	v_subrev_co_ci_u32_e32 v1, vcc_lo, 0, v3, vcc_lo
	v_add_co_u32 v17, vcc_lo, s18, v2
	s_delay_alu instid0(VALU_DEP_4) | instskip(NEXT) | instid1(VALU_DEP_3)
	v_add_co_ci_u32_e32 v18, vcc_lo, s19, v16, vcc_lo
	v_lshlrev_b64 v[0:1], 3, v[0:1]
	v_mov_b32_e32 v2, 0
	v_mov_b32_e32 v3, 0
	v_add_co_u32 v16, vcc_lo, v17, 4
	v_add_co_ci_u32_e32 v17, vcc_lo, 0, v18, vcc_lo
	v_add_co_u32 v18, vcc_lo, s16, v0
	v_add_co_ci_u32_e32 v19, vcc_lo, s17, v1, vcc_lo
	v_dual_mov_b32 v0, v2 :: v_dual_mov_b32 v1, v3
	s_subb_u32 s3, s9, 0
	s_sub_u32 s0, s6, s14
	s_subb_u32 s1, s7, 0
	s_branch .LBB41_15
.LBB41_14:                              ;   in Loop: Header=BB41_15 Depth=1
	s_or_b32 exec_lo, exec_lo, s6
	s_add_u32 s0, s0, 2
	s_addc_u32 s1, s1, 0
	v_add_co_u32 v16, vcc_lo, 0x190, v16
	v_cmp_ge_i64_e64 s6, s[0:1], s[2:3]
	v_add_co_ci_u32_e32 v17, vcc_lo, 0, v17, vcc_lo
	v_add_co_u32 v18, vcc_lo, v18, 16
	v_add_co_ci_u32_e32 v19, vcc_lo, 0, v19, vcc_lo
	s_delay_alu instid0(VALU_DEP_4)
	s_and_b32 vcc_lo, exec_lo, s6
	s_cbranch_vccnz .LBB41_17
.LBB41_15:                              ; =>This Inner Loop Header: Depth=1
	v_add_co_u32 v22, s6, v21, s0
	s_delay_alu instid0(VALU_DEP_1) | instskip(SKIP_1) | instid1(VALU_DEP_1)
	v_add_co_ci_u32_e64 v23, null, 0, s1, s6
	s_mov_b32 s6, exec_lo
	v_cmpx_gt_i64_e64 s[2:3], v[22:23]
	s_cbranch_execz .LBB41_14
; %bb.16:                               ;   in Loop: Header=BB41_15 Depth=1
	global_load_b64 v[22:23], v[18:19], off
	global_load_b64 v[26:27], v[16:17], off offset:-4
	s_waitcnt vmcnt(1)
	v_sub_co_u32 v24, vcc_lo, v22, s14
	v_subrev_co_ci_u32_e32 v28, vcc_lo, 0, v23, vcc_lo
	s_delay_alu instid0(VALU_DEP_2) | instskip(NEXT) | instid1(VALU_DEP_1)
	v_mad_u64_u32 v[22:23], null, 0x50, v24, v[14:15]
	v_mad_u64_u32 v[24:25], null, 0x50, v28, v[23:24]
	s_waitcnt vmcnt(0)
	v_cvt_f64_f32_e32 v[28:29], v26
	v_cvt_f64_f32_e32 v[26:27], v27
	s_delay_alu instid0(VALU_DEP_3) | instskip(SKIP_4) | instid1(VALU_DEP_2)
	v_mov_b32_e32 v23, v24
	global_load_b128 v[22:25], v[22:23], off
	s_waitcnt vmcnt(0)
	v_fma_f64 v[0:1], v[28:29], v[22:23], v[0:1]
	v_fma_f64 v[2:3], v[26:27], v[22:23], v[2:3]
	v_fma_f64 v[0:1], -v[26:27], v[24:25], v[0:1]
	s_delay_alu instid0(VALU_DEP_2)
	v_fma_f64 v[2:3], v[28:29], v[24:25], v[2:3]
	s_branch .LBB41_14
.LBB41_17:
	v_lshlrev_b32_e32 v18, 4, v6
	s_and_b32 vcc_lo, exec_lo, s15
	ds_store_b128 v18, v[0:3]
	s_waitcnt vmcnt(0) lgkmcnt(0)
	buffer_gl0_inv
	s_cbranch_vccz .LBB41_27
; %bb.18:
	s_mov_b32 s0, exec_lo
	v_cmpx_gt_u32_e32 25, v6
	s_cbranch_execz .LBB41_20
; %bb.19:
	ds_load_b128 v[14:17], v18 offset:400
	ds_load_b128 v[21:24], v18
	s_waitcnt lgkmcnt(0)
	v_add_f64 v[14:15], v[14:15], v[21:22]
	v_add_f64 v[16:17], v[16:17], v[23:24]
	ds_store_b128 v18, v[14:17]
.LBB41_20:
	s_or_b32 exec_lo, exec_lo, s0
	s_delay_alu instid0(SALU_CYCLE_1)
	s_mov_b32 s0, exec_lo
	s_waitcnt lgkmcnt(0)
	buffer_gl0_inv
	v_cmpx_eq_u16_e32 0, v20
	s_cbranch_execz .LBB41_22
; %bb.21:
	ds_load_b128 v[14:17], v18 offset:64
	ds_load_b128 v[21:24], v18
	s_waitcnt lgkmcnt(0)
	v_add_f64 v[14:15], v[14:15], v[21:22]
	v_add_f64 v[16:17], v[16:17], v[23:24]
	ds_store_b128 v18, v[14:17]
.LBB41_22:
	s_or_b32 exec_lo, exec_lo, s0
	s_delay_alu instid0(SALU_CYCLE_1)
	s_mov_b32 s0, exec_lo
	s_waitcnt lgkmcnt(0)
	buffer_gl0_inv
	v_cmpx_gt_u16_e32 2, v20
	s_cbranch_execz .LBB41_24
; %bb.23:
	ds_load_b128 v[14:17], v18
	ds_load_b128 v[19:22], v18 offset:32
	s_waitcnt lgkmcnt(0)
	v_add_f64 v[14:15], v[19:20], v[14:15]
	v_add_f64 v[16:17], v[21:22], v[16:17]
	ds_store_b128 v18, v[14:17]
.LBB41_24:
	s_or_b32 exec_lo, exec_lo, s0
	v_dual_mov_b32 v17, v3 :: v_dual_mov_b32 v16, v2
	v_dual_mov_b32 v15, v1 :: v_dual_mov_b32 v14, v0
	s_mov_b32 s0, exec_lo
	s_waitcnt lgkmcnt(0)
	buffer_gl0_inv
	v_cmpx_gt_u32_e32 5, v6
	s_cbranch_execz .LBB41_26
; %bb.25:
	v_lshl_add_u32 v19, v6, 6, v18
	ds_load_b128 v[14:17], v19
	ds_load_b128 v[19:22], v19 offset:16
	s_waitcnt lgkmcnt(0)
	v_add_f64 v[14:15], v[19:20], v[14:15]
	v_add_f64 v[16:17], v[21:22], v[16:17]
.LBB41_26:
	s_or_b32 exec_lo, exec_lo, s0
	s_branch .LBB41_37
.LBB41_27:
                                        ; implicit-def: $vgpr16_vgpr17
                                        ; implicit-def: $vgpr14_vgpr15
	s_cbranch_execz .LBB41_37
; %bb.28:
	v_cmp_gt_u32_e32 vcc_lo, 10, v6
	s_and_saveexec_b32 s0, vcc_lo
	s_cbranch_execz .LBB41_30
; %bb.29:
	ds_load_b128 v[14:17], v18 offset:640
	ds_load_b128 v[19:22], v18
	s_waitcnt lgkmcnt(0)
	v_add_f64 v[14:15], v[14:15], v[19:20]
	v_add_f64 v[16:17], v[16:17], v[21:22]
	ds_store_b128 v18, v[14:17]
.LBB41_30:
	s_or_b32 exec_lo, exec_lo, s0
	s_delay_alu instid0(SALU_CYCLE_1)
	s_mov_b32 s1, exec_lo
	s_waitcnt lgkmcnt(0)
	buffer_gl0_inv
	v_cmpx_gt_u32_e32 20, v6
	s_cbranch_execz .LBB41_32
; %bb.31:
	ds_load_b128 v[14:17], v18 offset:320
	ds_load_b128 v[19:22], v18
	s_waitcnt lgkmcnt(0)
	v_add_f64 v[14:15], v[14:15], v[19:20]
	v_add_f64 v[16:17], v[16:17], v[21:22]
	ds_store_b128 v18, v[14:17]
.LBB41_32:
	s_or_b32 exec_lo, exec_lo, s1
	s_waitcnt lgkmcnt(0)
	buffer_gl0_inv
	s_and_saveexec_b32 s0, vcc_lo
	s_cbranch_execz .LBB41_34
; %bb.33:
	ds_load_b128 v[14:17], v18 offset:160
	ds_load_b128 v[19:22], v18
	s_waitcnt lgkmcnt(0)
	v_add_f64 v[14:15], v[14:15], v[19:20]
	v_add_f64 v[16:17], v[16:17], v[21:22]
	ds_store_b128 v18, v[14:17]
.LBB41_34:
	s_or_b32 exec_lo, exec_lo, s0
	s_delay_alu instid0(SALU_CYCLE_1)
	s_mov_b32 s0, exec_lo
	s_waitcnt lgkmcnt(0)
	buffer_gl0_inv
	v_cmpx_gt_u32_e32 5, v6
	s_cbranch_execz .LBB41_36
; %bb.35:
	ds_load_b128 v[0:3], v18 offset:80
	ds_load_b128 v[14:17], v18
	s_waitcnt lgkmcnt(0)
	v_add_f64 v[0:1], v[0:1], v[14:15]
	v_add_f64 v[2:3], v[2:3], v[16:17]
.LBB41_36:
	s_or_b32 exec_lo, exec_lo, s0
	s_delay_alu instid0(VALU_DEP_1) | instskip(NEXT) | instid1(VALU_DEP_3)
	v_dual_mov_b32 v17, v3 :: v_dual_mov_b32 v16, v2
	v_dual_mov_b32 v15, v1 :: v_dual_mov_b32 v14, v0
.LBB41_37:
	v_cmp_gt_u32_e32 vcc_lo, 5, v6
	s_and_b32 exec_lo, exec_lo, vcc_lo
	s_cbranch_execz .LBB41_42
; %bb.38:
	s_delay_alu instid0(VALU_DEP_2)
	v_mul_f64 v[0:1], v[16:17], -v[12:13]
	v_mul_f64 v[2:3], v[10:11], v[16:17]
	v_cmp_eq_f64_e32 vcc_lo, 0, v[4:5]
	v_cmp_eq_f64_e64 s0, 0, v[8:9]
	v_lshlrev_b64 v[6:7], 4, v[6:7]
	s_mul_hi_u32 s1, s12, 0x50
	s_mul_i32 s2, s12, 0x50
	v_fma_f64 v[0:1], v[10:11], v[14:15], v[0:1]
	v_fma_f64 v[2:3], v[12:13], v[14:15], v[2:3]
	s_delay_alu instid0(VALU_DEP_4) | instskip(SKIP_2) | instid1(SALU_CYCLE_1)
	s_and_b32 s3, vcc_lo, s0
	s_mul_i32 s0, s13, 0x50
	s_and_saveexec_b32 s6, s3
	s_xor_b32 s3, exec_lo, s6
	s_cbranch_execz .LBB41_40
; %bb.39:
	s_add_i32 s6, s1, s0
	s_add_u32 s7, s4, s2
	s_addc_u32 s6, s5, s6
	v_add_co_u32 v4, vcc_lo, s7, v6
	v_add_co_ci_u32_e32 v5, vcc_lo, s6, v7, vcc_lo
                                        ; implicit-def: $vgpr6_vgpr7
                                        ; implicit-def: $vgpr8_vgpr9
	global_store_b128 v[4:5], v[0:3], off
                                        ; implicit-def: $vgpr4_vgpr5
                                        ; implicit-def: $vgpr0_vgpr1
.LBB41_40:
	s_and_not1_saveexec_b32 s3, s3
	s_cbranch_execz .LBB41_42
; %bb.41:
	s_add_i32 s1, s1, s0
	s_add_u32 s0, s4, s2
	s_addc_u32 s1, s5, s1
	v_add_co_u32 v6, vcc_lo, s0, v6
	v_add_co_ci_u32_e32 v7, vcc_lo, s1, v7, vcc_lo
	global_load_b128 v[10:13], v[6:7], off
	s_waitcnt vmcnt(0)
	v_fma_f64 v[0:1], v[4:5], v[10:11], v[0:1]
	v_fma_f64 v[2:3], v[8:9], v[10:11], v[2:3]
	s_delay_alu instid0(VALU_DEP_2) | instskip(NEXT) | instid1(VALU_DEP_2)
	v_fma_f64 v[0:1], -v[8:9], v[12:13], v[0:1]
	v_fma_f64 v[2:3], v[4:5], v[12:13], v[2:3]
	global_store_b128 v[6:7], v[0:3], off
.LBB41_42:
	s_nop 0
	s_sendmsg sendmsg(MSG_DEALLOC_VGPRS)
	s_endpgm
	.section	.rodata,"a",@progbits
	.p2align	6, 0x0
	.amdhsa_kernel _ZN9rocsparseL18bsrxmvn_5x5_kernelILj50E21rocsparse_complex_numIdEllS1_IfES2_S2_EEvT2_20rocsparse_direction_NS_24const_host_device_scalarIT0_EES4_PKS4_PKT1_SD_SA_PKT3_PKT4_S8_PT5_21rocsparse_index_base_b
		.amdhsa_group_segment_fixed_size 1600
		.amdhsa_private_segment_fixed_size 0
		.amdhsa_kernarg_size 120
		.amdhsa_user_sgpr_count 15
		.amdhsa_user_sgpr_dispatch_ptr 1
		.amdhsa_user_sgpr_queue_ptr 0
		.amdhsa_user_sgpr_kernarg_segment_ptr 1
		.amdhsa_user_sgpr_dispatch_id 0
		.amdhsa_user_sgpr_private_segment_size 0
		.amdhsa_wavefront_size32 1
		.amdhsa_uses_dynamic_stack 0
		.amdhsa_enable_private_segment 0
		.amdhsa_system_sgpr_workgroup_id_x 1
		.amdhsa_system_sgpr_workgroup_id_y 0
		.amdhsa_system_sgpr_workgroup_id_z 0
		.amdhsa_system_sgpr_workgroup_info 0
		.amdhsa_system_vgpr_workitem_id 2
		.amdhsa_next_free_vgpr 30
		.amdhsa_next_free_sgpr 20
		.amdhsa_reserve_vcc 1
		.amdhsa_float_round_mode_32 0
		.amdhsa_float_round_mode_16_64 0
		.amdhsa_float_denorm_mode_32 3
		.amdhsa_float_denorm_mode_16_64 3
		.amdhsa_dx10_clamp 1
		.amdhsa_ieee_mode 1
		.amdhsa_fp16_overflow 0
		.amdhsa_workgroup_processor_mode 1
		.amdhsa_memory_ordered 1
		.amdhsa_forward_progress 0
		.amdhsa_shared_vgpr_count 0
		.amdhsa_exception_fp_ieee_invalid_op 0
		.amdhsa_exception_fp_denorm_src 0
		.amdhsa_exception_fp_ieee_div_zero 0
		.amdhsa_exception_fp_ieee_overflow 0
		.amdhsa_exception_fp_ieee_underflow 0
		.amdhsa_exception_fp_ieee_inexact 0
		.amdhsa_exception_int_div_zero 0
	.end_amdhsa_kernel
	.section	.text._ZN9rocsparseL18bsrxmvn_5x5_kernelILj50E21rocsparse_complex_numIdEllS1_IfES2_S2_EEvT2_20rocsparse_direction_NS_24const_host_device_scalarIT0_EES4_PKS4_PKT1_SD_SA_PKT3_PKT4_S8_PT5_21rocsparse_index_base_b,"axG",@progbits,_ZN9rocsparseL18bsrxmvn_5x5_kernelILj50E21rocsparse_complex_numIdEllS1_IfES2_S2_EEvT2_20rocsparse_direction_NS_24const_host_device_scalarIT0_EES4_PKS4_PKT1_SD_SA_PKT3_PKT4_S8_PT5_21rocsparse_index_base_b,comdat
.Lfunc_end41:
	.size	_ZN9rocsparseL18bsrxmvn_5x5_kernelILj50E21rocsparse_complex_numIdEllS1_IfES2_S2_EEvT2_20rocsparse_direction_NS_24const_host_device_scalarIT0_EES4_PKS4_PKT1_SD_SA_PKT3_PKT4_S8_PT5_21rocsparse_index_base_b, .Lfunc_end41-_ZN9rocsparseL18bsrxmvn_5x5_kernelILj50E21rocsparse_complex_numIdEllS1_IfES2_S2_EEvT2_20rocsparse_direction_NS_24const_host_device_scalarIT0_EES4_PKS4_PKT1_SD_SA_PKT3_PKT4_S8_PT5_21rocsparse_index_base_b
                                        ; -- End function
	.section	.AMDGPU.csdata,"",@progbits
; Kernel info:
; codeLenInByte = 2044
; NumSgprs: 22
; NumVgprs: 30
; ScratchSize: 0
; MemoryBound: 0
; FloatMode: 240
; IeeeMode: 1
; LDSByteSize: 1600 bytes/workgroup (compile time only)
; SGPRBlocks: 2
; VGPRBlocks: 3
; NumSGPRsForWavesPerEU: 22
; NumVGPRsForWavesPerEU: 30
; Occupancy: 16
; WaveLimiterHint : 1
; COMPUTE_PGM_RSRC2:SCRATCH_EN: 0
; COMPUTE_PGM_RSRC2:USER_SGPR: 15
; COMPUTE_PGM_RSRC2:TRAP_HANDLER: 0
; COMPUTE_PGM_RSRC2:TGID_X_EN: 1
; COMPUTE_PGM_RSRC2:TGID_Y_EN: 0
; COMPUTE_PGM_RSRC2:TGID_Z_EN: 0
; COMPUTE_PGM_RSRC2:TIDIG_COMP_CNT: 2
	.text
	.p2alignl 7, 3214868480
	.fill 96, 4, 3214868480
	.type	__hip_cuid_1101ad595b0b44b6,@object ; @__hip_cuid_1101ad595b0b44b6
	.section	.bss,"aw",@nobits
	.globl	__hip_cuid_1101ad595b0b44b6
__hip_cuid_1101ad595b0b44b6:
	.byte	0                               ; 0x0
	.size	__hip_cuid_1101ad595b0b44b6, 1

	.ident	"AMD clang version 19.0.0git (https://github.com/RadeonOpenCompute/llvm-project roc-6.4.0 25133 c7fe45cf4b819c5991fe208aaa96edf142730f1d)"
	.section	".note.GNU-stack","",@progbits
	.addrsig
	.addrsig_sym __hip_cuid_1101ad595b0b44b6
	.amdgpu_metadata
---
amdhsa.kernels:
  - .args:
      - .offset:         0
        .size:           4
        .value_kind:     by_value
      - .offset:         4
        .size:           4
        .value_kind:     by_value
      - .offset:         8
        .size:           8
        .value_kind:     by_value
      - .offset:         16
        .size:           4
        .value_kind:     by_value
      - .actual_access:  read_only
        .address_space:  global
        .offset:         24
        .size:           8
        .value_kind:     global_buffer
      - .actual_access:  read_only
        .address_space:  global
        .offset:         32
        .size:           8
        .value_kind:     global_buffer
      - .actual_access:  read_only
        .address_space:  global
        .offset:         40
        .size:           8
        .value_kind:     global_buffer
      - .actual_access:  read_only
        .address_space:  global
        .offset:         48
        .size:           8
        .value_kind:     global_buffer
      - .actual_access:  read_only
        .address_space:  global
        .offset:         56
        .size:           8
        .value_kind:     global_buffer
      - .actual_access:  read_only
        .address_space:  global
        .offset:         64
        .size:           8
        .value_kind:     global_buffer
      - .offset:         72
        .size:           8
        .value_kind:     by_value
      - .address_space:  global
        .offset:         80
        .size:           8
        .value_kind:     global_buffer
      - .offset:         88
        .size:           4
        .value_kind:     by_value
      - .offset:         92
        .size:           1
        .value_kind:     by_value
    .group_segment_fixed_size: 200
    .kernarg_segment_align: 8
    .kernarg_segment_size: 96
    .language:       OpenCL C
    .language_version:
      - 2
      - 0
    .max_flat_workgroup_size: 50
    .name:           _ZN9rocsparseL18bsrxmvn_5x5_kernelILj50EfiifffEEvT2_20rocsparse_direction_NS_24const_host_device_scalarIT0_EES1_PKS1_PKT1_SA_S7_PKT3_PKT4_S5_PT5_21rocsparse_index_base_b
    .private_segment_fixed_size: 0
    .sgpr_count:     18
    .sgpr_spill_count: 0
    .symbol:         _ZN9rocsparseL18bsrxmvn_5x5_kernelILj50EfiifffEEvT2_20rocsparse_direction_NS_24const_host_device_scalarIT0_EES1_PKS1_PKT1_SA_S7_PKT3_PKT4_S5_PT5_21rocsparse_index_base_b.kd
    .uniform_work_group_size: 1
    .uses_dynamic_stack: false
    .vgpr_count:     11
    .vgpr_spill_count: 0
    .wavefront_size: 32
    .workgroup_processor_mode: 1
  - .args:
      - .offset:         0
        .size:           4
        .value_kind:     by_value
      - .offset:         8
        .size:           8
        .value_kind:     by_value
      - .offset:         16
        .size:           4
        .value_kind:     by_value
      - .actual_access:  read_only
        .address_space:  global
        .offset:         24
        .size:           8
        .value_kind:     global_buffer
      - .actual_access:  read_only
        .address_space:  global
        .offset:         32
        .size:           8
        .value_kind:     global_buffer
      - .actual_access:  read_only
        .address_space:  global
        .offset:         40
        .size:           8
        .value_kind:     global_buffer
      - .actual_access:  read_only
        .address_space:  global
        .offset:         48
        .size:           8
        .value_kind:     global_buffer
      - .actual_access:  read_only
        .address_space:  global
        .offset:         56
        .size:           8
        .value_kind:     global_buffer
      - .actual_access:  read_only
        .address_space:  global
        .offset:         64
        .size:           8
        .value_kind:     global_buffer
      - .offset:         72
        .size:           8
        .value_kind:     by_value
      - .address_space:  global
        .offset:         80
        .size:           8
        .value_kind:     global_buffer
      - .offset:         88
        .size:           4
        .value_kind:     by_value
      - .offset:         92
        .size:           1
        .value_kind:     by_value
      - .offset:         96
        .size:           4
        .value_kind:     hidden_block_count_x
      - .offset:         100
        .size:           4
        .value_kind:     hidden_block_count_y
      - .offset:         104
        .size:           4
        .value_kind:     hidden_block_count_z
      - .offset:         108
        .size:           2
        .value_kind:     hidden_group_size_x
      - .offset:         110
        .size:           2
        .value_kind:     hidden_group_size_y
      - .offset:         112
        .size:           2
        .value_kind:     hidden_group_size_z
      - .offset:         114
        .size:           2
        .value_kind:     hidden_remainder_x
      - .offset:         116
        .size:           2
        .value_kind:     hidden_remainder_y
      - .offset:         118
        .size:           2
        .value_kind:     hidden_remainder_z
      - .offset:         136
        .size:           8
        .value_kind:     hidden_global_offset_x
      - .offset:         144
        .size:           8
        .value_kind:     hidden_global_offset_y
      - .offset:         152
        .size:           8
        .value_kind:     hidden_global_offset_z
      - .offset:         160
        .size:           2
        .value_kind:     hidden_grid_dims
    .group_segment_fixed_size: 0
    .kernarg_segment_align: 8
    .kernarg_segment_size: 352
    .language:       OpenCL C
    .language_version:
      - 2
      - 0
    .max_flat_workgroup_size: 256
    .name:           _ZN9rocsparseL19sbsrxmvn_5x5_kernelILj256EL20rocsparse_direction_0EiiEEvT2_NS_24const_host_device_scalarIfEES2_PKS2_PKT1_S9_S6_PKfSB_S4_Pf21rocsparse_index_base_b
    .private_segment_fixed_size: 0
    .sgpr_count:     18
    .sgpr_spill_count: 0
    .symbol:         _ZN9rocsparseL19sbsrxmvn_5x5_kernelILj256EL20rocsparse_direction_0EiiEEvT2_NS_24const_host_device_scalarIfEES2_PKS2_PKT1_S9_S6_PKfSB_S4_Pf21rocsparse_index_base_b.kd
    .uniform_work_group_size: 1
    .uses_dynamic_stack: false
    .vgpr_count:     23
    .vgpr_spill_count: 0
    .wavefront_size: 32
    .workgroup_processor_mode: 1
  - .args:
      - .offset:         0
        .size:           4
        .value_kind:     by_value
      - .offset:         8
        .size:           8
        .value_kind:     by_value
      - .offset:         16
        .size:           4
        .value_kind:     by_value
      - .actual_access:  read_only
        .address_space:  global
        .offset:         24
        .size:           8
        .value_kind:     global_buffer
      - .actual_access:  read_only
        .address_space:  global
        .offset:         32
        .size:           8
        .value_kind:     global_buffer
      - .actual_access:  read_only
        .address_space:  global
        .offset:         40
        .size:           8
        .value_kind:     global_buffer
      - .actual_access:  read_only
        .address_space:  global
        .offset:         48
        .size:           8
        .value_kind:     global_buffer
      - .actual_access:  read_only
        .address_space:  global
        .offset:         56
        .size:           8
        .value_kind:     global_buffer
      - .actual_access:  read_only
        .address_space:  global
        .offset:         64
        .size:           8
        .value_kind:     global_buffer
      - .offset:         72
        .size:           8
        .value_kind:     by_value
      - .address_space:  global
        .offset:         80
        .size:           8
        .value_kind:     global_buffer
      - .offset:         88
        .size:           4
        .value_kind:     by_value
      - .offset:         92
        .size:           1
        .value_kind:     by_value
      - .offset:         96
        .size:           4
        .value_kind:     hidden_block_count_x
      - .offset:         100
        .size:           4
        .value_kind:     hidden_block_count_y
      - .offset:         104
        .size:           4
        .value_kind:     hidden_block_count_z
      - .offset:         108
        .size:           2
        .value_kind:     hidden_group_size_x
      - .offset:         110
        .size:           2
        .value_kind:     hidden_group_size_y
      - .offset:         112
        .size:           2
        .value_kind:     hidden_group_size_z
      - .offset:         114
        .size:           2
        .value_kind:     hidden_remainder_x
      - .offset:         116
        .size:           2
        .value_kind:     hidden_remainder_y
      - .offset:         118
        .size:           2
        .value_kind:     hidden_remainder_z
      - .offset:         136
        .size:           8
        .value_kind:     hidden_global_offset_x
      - .offset:         144
        .size:           8
        .value_kind:     hidden_global_offset_y
      - .offset:         152
        .size:           8
        .value_kind:     hidden_global_offset_z
      - .offset:         160
        .size:           2
        .value_kind:     hidden_grid_dims
    .group_segment_fixed_size: 0
    .kernarg_segment_align: 8
    .kernarg_segment_size: 352
    .language:       OpenCL C
    .language_version:
      - 2
      - 0
    .max_flat_workgroup_size: 256
    .name:           _ZN9rocsparseL19sbsrxmvn_5x5_kernelILj256EL20rocsparse_direction_1EiiEEvT2_NS_24const_host_device_scalarIfEES2_PKS2_PKT1_S9_S6_PKfSB_S4_Pf21rocsparse_index_base_b
    .private_segment_fixed_size: 0
    .sgpr_count:     18
    .sgpr_spill_count: 0
    .symbol:         _ZN9rocsparseL19sbsrxmvn_5x5_kernelILj256EL20rocsparse_direction_1EiiEEvT2_NS_24const_host_device_scalarIfEES2_PKS2_PKT1_S9_S6_PKfSB_S4_Pf21rocsparse_index_base_b.kd
    .uniform_work_group_size: 1
    .uses_dynamic_stack: false
    .vgpr_count:     23
    .vgpr_spill_count: 0
    .wavefront_size: 32
    .workgroup_processor_mode: 1
  - .args:
      - .offset:         0
        .size:           4
        .value_kind:     by_value
      - .offset:         4
        .size:           4
        .value_kind:     by_value
      - .offset:         8
        .size:           8
        .value_kind:     by_value
      - .offset:         16
        .size:           4
        .value_kind:     by_value
      - .actual_access:  read_only
        .address_space:  global
        .offset:         24
        .size:           8
        .value_kind:     global_buffer
      - .actual_access:  read_only
        .address_space:  global
        .offset:         32
        .size:           8
        .value_kind:     global_buffer
      - .actual_access:  read_only
        .address_space:  global
        .offset:         40
        .size:           8
        .value_kind:     global_buffer
      - .actual_access:  read_only
        .address_space:  global
        .offset:         48
        .size:           8
        .value_kind:     global_buffer
      - .actual_access:  read_only
        .address_space:  global
        .offset:         56
        .size:           8
        .value_kind:     global_buffer
      - .actual_access:  read_only
        .address_space:  global
        .offset:         64
        .size:           8
        .value_kind:     global_buffer
      - .offset:         72
        .size:           8
        .value_kind:     by_value
      - .address_space:  global
        .offset:         80
        .size:           8
        .value_kind:     global_buffer
      - .offset:         88
        .size:           4
        .value_kind:     by_value
      - .offset:         92
        .size:           1
        .value_kind:     by_value
    .group_segment_fixed_size: 400
    .kernarg_segment_align: 8
    .kernarg_segment_size: 96
    .language:       OpenCL C
    .language_version:
      - 2
      - 0
    .max_flat_workgroup_size: 50
    .name:           _ZN9rocsparseL18bsrxmvn_5x5_kernelILj50EdiidddEEvT2_20rocsparse_direction_NS_24const_host_device_scalarIT0_EES1_PKS1_PKT1_SA_S7_PKT3_PKT4_S5_PT5_21rocsparse_index_base_b
    .private_segment_fixed_size: 0
    .sgpr_count:     18
    .sgpr_spill_count: 0
    .symbol:         _ZN9rocsparseL18bsrxmvn_5x5_kernelILj50EdiidddEEvT2_20rocsparse_direction_NS_24const_host_device_scalarIT0_EES1_PKS1_PKT1_SA_S7_PKT3_PKT4_S5_PT5_21rocsparse_index_base_b.kd
    .uniform_work_group_size: 1
    .uses_dynamic_stack: false
    .vgpr_count:     16
    .vgpr_spill_count: 0
    .wavefront_size: 32
    .workgroup_processor_mode: 1
  - .args:
      - .offset:         0
        .size:           4
        .value_kind:     by_value
      - .offset:         4
        .size:           4
        .value_kind:     by_value
      - .offset:         8
        .size:           8
        .value_kind:     by_value
      - .offset:         16
        .size:           4
        .value_kind:     by_value
      - .actual_access:  read_only
        .address_space:  global
        .offset:         24
        .size:           8
        .value_kind:     global_buffer
      - .actual_access:  read_only
        .address_space:  global
        .offset:         32
        .size:           8
        .value_kind:     global_buffer
      - .actual_access:  read_only
        .address_space:  global
        .offset:         40
        .size:           8
        .value_kind:     global_buffer
      - .actual_access:  read_only
        .address_space:  global
        .offset:         48
        .size:           8
        .value_kind:     global_buffer
      - .actual_access:  read_only
        .address_space:  global
        .offset:         56
        .size:           8
        .value_kind:     global_buffer
      - .actual_access:  read_only
        .address_space:  global
        .offset:         64
        .size:           8
        .value_kind:     global_buffer
      - .offset:         72
        .size:           8
        .value_kind:     by_value
      - .address_space:  global
        .offset:         80
        .size:           8
        .value_kind:     global_buffer
      - .offset:         88
        .size:           4
        .value_kind:     by_value
      - .offset:         92
        .size:           1
        .value_kind:     by_value
    .group_segment_fixed_size: 400
    .kernarg_segment_align: 8
    .kernarg_segment_size: 96
    .language:       OpenCL C
    .language_version:
      - 2
      - 0
    .max_flat_workgroup_size: 50
    .name:           _ZN9rocsparseL18bsrxmvn_5x5_kernelILj50E21rocsparse_complex_numIfEiiS2_S2_S2_EEvT2_20rocsparse_direction_NS_24const_host_device_scalarIT0_EES3_PKS3_PKT1_SC_S9_PKT3_PKT4_S7_PT5_21rocsparse_index_base_b
    .private_segment_fixed_size: 0
    .sgpr_count:     18
    .sgpr_spill_count: 0
    .symbol:         _ZN9rocsparseL18bsrxmvn_5x5_kernelILj50E21rocsparse_complex_numIfEiiS2_S2_S2_EEvT2_20rocsparse_direction_NS_24const_host_device_scalarIT0_EES3_PKS3_PKT1_SC_S9_PKT3_PKT4_S7_PT5_21rocsparse_index_base_b.kd
    .uniform_work_group_size: 1
    .uses_dynamic_stack: false
    .vgpr_count:     16
    .vgpr_spill_count: 0
    .wavefront_size: 32
    .workgroup_processor_mode: 1
  - .args:
      - .offset:         0
        .size:           4
        .value_kind:     by_value
      - .offset:         4
        .size:           4
        .value_kind:     by_value
      - .offset:         8
        .size:           16
        .value_kind:     by_value
      - .offset:         24
        .size:           4
        .value_kind:     by_value
      - .actual_access:  read_only
        .address_space:  global
        .offset:         32
        .size:           8
        .value_kind:     global_buffer
      - .actual_access:  read_only
        .address_space:  global
        .offset:         40
        .size:           8
        .value_kind:     global_buffer
      - .actual_access:  read_only
        .address_space:  global
        .offset:         48
        .size:           8
        .value_kind:     global_buffer
      - .actual_access:  read_only
        .address_space:  global
        .offset:         56
        .size:           8
        .value_kind:     global_buffer
      - .actual_access:  read_only
        .address_space:  global
        .offset:         64
        .size:           8
        .value_kind:     global_buffer
      - .actual_access:  read_only
        .address_space:  global
        .offset:         72
        .size:           8
        .value_kind:     global_buffer
      - .offset:         80
        .size:           16
        .value_kind:     by_value
      - .address_space:  global
        .offset:         96
        .size:           8
        .value_kind:     global_buffer
      - .offset:         104
        .size:           4
        .value_kind:     by_value
      - .offset:         108
        .size:           1
        .value_kind:     by_value
    .group_segment_fixed_size: 1600
    .kernarg_segment_align: 8
    .kernarg_segment_size: 112
    .language:       OpenCL C
    .language_version:
      - 2
      - 0
    .max_flat_workgroup_size: 50
    .name:           _ZN9rocsparseL18bsrxmvn_5x5_kernelILj50E21rocsparse_complex_numIdEiiS2_S2_S2_EEvT2_20rocsparse_direction_NS_24const_host_device_scalarIT0_EES3_PKS3_PKT1_SC_S9_PKT3_PKT4_S7_PT5_21rocsparse_index_base_b
    .private_segment_fixed_size: 0
    .sgpr_count:     20
    .sgpr_spill_count: 0
    .symbol:         _ZN9rocsparseL18bsrxmvn_5x5_kernelILj50E21rocsparse_complex_numIdEiiS2_S2_S2_EEvT2_20rocsparse_direction_NS_24const_host_device_scalarIT0_EES3_PKS3_PKT1_SC_S9_PKT3_PKT4_S7_PT5_21rocsparse_index_base_b.kd
    .uniform_work_group_size: 1
    .uses_dynamic_stack: false
    .vgpr_count:     28
    .vgpr_spill_count: 0
    .wavefront_size: 32
    .workgroup_processor_mode: 1
  - .args:
      - .offset:         0
        .size:           4
        .value_kind:     by_value
      - .offset:         4
        .size:           4
        .value_kind:     by_value
      - .offset:         8
        .size:           8
        .value_kind:     by_value
      - .offset:         16
        .size:           4
        .value_kind:     by_value
      - .actual_access:  read_only
        .address_space:  global
        .offset:         24
        .size:           8
        .value_kind:     global_buffer
      - .actual_access:  read_only
        .address_space:  global
        .offset:         32
        .size:           8
        .value_kind:     global_buffer
      - .actual_access:  read_only
        .address_space:  global
        .offset:         40
        .size:           8
        .value_kind:     global_buffer
      - .actual_access:  read_only
        .address_space:  global
        .offset:         48
        .size:           8
        .value_kind:     global_buffer
      - .actual_access:  read_only
        .address_space:  global
        .offset:         56
        .size:           8
        .value_kind:     global_buffer
      - .actual_access:  read_only
        .address_space:  global
        .offset:         64
        .size:           8
        .value_kind:     global_buffer
      - .offset:         72
        .size:           8
        .value_kind:     by_value
      - .address_space:  global
        .offset:         80
        .size:           8
        .value_kind:     global_buffer
      - .offset:         88
        .size:           4
        .value_kind:     by_value
      - .offset:         92
        .size:           1
        .value_kind:     by_value
    .group_segment_fixed_size: 200
    .kernarg_segment_align: 8
    .kernarg_segment_size: 96
    .language:       OpenCL C
    .language_version:
      - 2
      - 0
    .max_flat_workgroup_size: 50
    .name:           _ZN9rocsparseL18bsrxmvn_5x5_kernelILj50EflifffEEvT2_20rocsparse_direction_NS_24const_host_device_scalarIT0_EES1_PKS1_PKT1_SA_S7_PKT3_PKT4_S5_PT5_21rocsparse_index_base_b
    .private_segment_fixed_size: 0
    .sgpr_count:     26
    .sgpr_spill_count: 0
    .symbol:         _ZN9rocsparseL18bsrxmvn_5x5_kernelILj50EflifffEEvT2_20rocsparse_direction_NS_24const_host_device_scalarIT0_EES1_PKS1_PKT1_SA_S7_PKT3_PKT4_S5_PT5_21rocsparse_index_base_b.kd
    .uniform_work_group_size: 1
    .uses_dynamic_stack: false
    .vgpr_count:     13
    .vgpr_spill_count: 0
    .wavefront_size: 32
    .workgroup_processor_mode: 1
  - .args:
      - .offset:         0
        .size:           4
        .value_kind:     by_value
      - .offset:         8
        .size:           8
        .value_kind:     by_value
      - .offset:         16
        .size:           4
        .value_kind:     by_value
      - .actual_access:  read_only
        .address_space:  global
        .offset:         24
        .size:           8
        .value_kind:     global_buffer
      - .actual_access:  read_only
        .address_space:  global
        .offset:         32
        .size:           8
        .value_kind:     global_buffer
      - .actual_access:  read_only
        .address_space:  global
        .offset:         40
        .size:           8
        .value_kind:     global_buffer
      - .actual_access:  read_only
        .address_space:  global
        .offset:         48
        .size:           8
        .value_kind:     global_buffer
      - .actual_access:  read_only
        .address_space:  global
        .offset:         56
        .size:           8
        .value_kind:     global_buffer
      - .actual_access:  read_only
        .address_space:  global
        .offset:         64
        .size:           8
        .value_kind:     global_buffer
      - .offset:         72
        .size:           8
        .value_kind:     by_value
      - .address_space:  global
        .offset:         80
        .size:           8
        .value_kind:     global_buffer
      - .offset:         88
        .size:           4
        .value_kind:     by_value
      - .offset:         92
        .size:           1
        .value_kind:     by_value
      - .offset:         96
        .size:           4
        .value_kind:     hidden_block_count_x
      - .offset:         100
        .size:           4
        .value_kind:     hidden_block_count_y
      - .offset:         104
        .size:           4
        .value_kind:     hidden_block_count_z
      - .offset:         108
        .size:           2
        .value_kind:     hidden_group_size_x
      - .offset:         110
        .size:           2
        .value_kind:     hidden_group_size_y
      - .offset:         112
        .size:           2
        .value_kind:     hidden_group_size_z
      - .offset:         114
        .size:           2
        .value_kind:     hidden_remainder_x
      - .offset:         116
        .size:           2
        .value_kind:     hidden_remainder_y
      - .offset:         118
        .size:           2
        .value_kind:     hidden_remainder_z
      - .offset:         136
        .size:           8
        .value_kind:     hidden_global_offset_x
      - .offset:         144
        .size:           8
        .value_kind:     hidden_global_offset_y
      - .offset:         152
        .size:           8
        .value_kind:     hidden_global_offset_z
      - .offset:         160
        .size:           2
        .value_kind:     hidden_grid_dims
    .group_segment_fixed_size: 0
    .kernarg_segment_align: 8
    .kernarg_segment_size: 352
    .language:       OpenCL C
    .language_version:
      - 2
      - 0
    .max_flat_workgroup_size: 256
    .name:           _ZN9rocsparseL19sbsrxmvn_5x5_kernelILj256EL20rocsparse_direction_0EliEEvT2_NS_24const_host_device_scalarIfEES2_PKS2_PKT1_S9_S6_PKfSB_S4_Pf21rocsparse_index_base_b
    .private_segment_fixed_size: 0
    .sgpr_count:     18
    .sgpr_spill_count: 0
    .symbol:         _ZN9rocsparseL19sbsrxmvn_5x5_kernelILj256EL20rocsparse_direction_0EliEEvT2_NS_24const_host_device_scalarIfEES2_PKS2_PKT1_S9_S6_PKfSB_S4_Pf21rocsparse_index_base_b.kd
    .uniform_work_group_size: 1
    .uses_dynamic_stack: false
    .vgpr_count:     25
    .vgpr_spill_count: 0
    .wavefront_size: 32
    .workgroup_processor_mode: 1
  - .args:
      - .offset:         0
        .size:           4
        .value_kind:     by_value
      - .offset:         8
        .size:           8
        .value_kind:     by_value
      - .offset:         16
        .size:           4
        .value_kind:     by_value
      - .actual_access:  read_only
        .address_space:  global
        .offset:         24
        .size:           8
        .value_kind:     global_buffer
      - .actual_access:  read_only
        .address_space:  global
        .offset:         32
        .size:           8
        .value_kind:     global_buffer
      - .actual_access:  read_only
        .address_space:  global
        .offset:         40
        .size:           8
        .value_kind:     global_buffer
      - .actual_access:  read_only
        .address_space:  global
        .offset:         48
        .size:           8
        .value_kind:     global_buffer
      - .actual_access:  read_only
        .address_space:  global
        .offset:         56
        .size:           8
        .value_kind:     global_buffer
      - .actual_access:  read_only
        .address_space:  global
        .offset:         64
        .size:           8
        .value_kind:     global_buffer
      - .offset:         72
        .size:           8
        .value_kind:     by_value
      - .address_space:  global
        .offset:         80
        .size:           8
        .value_kind:     global_buffer
      - .offset:         88
        .size:           4
        .value_kind:     by_value
      - .offset:         92
        .size:           1
        .value_kind:     by_value
      - .offset:         96
        .size:           4
        .value_kind:     hidden_block_count_x
      - .offset:         100
        .size:           4
        .value_kind:     hidden_block_count_y
      - .offset:         104
        .size:           4
        .value_kind:     hidden_block_count_z
      - .offset:         108
        .size:           2
        .value_kind:     hidden_group_size_x
      - .offset:         110
        .size:           2
        .value_kind:     hidden_group_size_y
      - .offset:         112
        .size:           2
        .value_kind:     hidden_group_size_z
      - .offset:         114
        .size:           2
        .value_kind:     hidden_remainder_x
      - .offset:         116
        .size:           2
        .value_kind:     hidden_remainder_y
      - .offset:         118
        .size:           2
        .value_kind:     hidden_remainder_z
      - .offset:         136
        .size:           8
        .value_kind:     hidden_global_offset_x
      - .offset:         144
        .size:           8
        .value_kind:     hidden_global_offset_y
      - .offset:         152
        .size:           8
        .value_kind:     hidden_global_offset_z
      - .offset:         160
        .size:           2
        .value_kind:     hidden_grid_dims
    .group_segment_fixed_size: 0
    .kernarg_segment_align: 8
    .kernarg_segment_size: 352
    .language:       OpenCL C
    .language_version:
      - 2
      - 0
    .max_flat_workgroup_size: 256
    .name:           _ZN9rocsparseL19sbsrxmvn_5x5_kernelILj256EL20rocsparse_direction_1EliEEvT2_NS_24const_host_device_scalarIfEES2_PKS2_PKT1_S9_S6_PKfSB_S4_Pf21rocsparse_index_base_b
    .private_segment_fixed_size: 0
    .sgpr_count:     18
    .sgpr_spill_count: 0
    .symbol:         _ZN9rocsparseL19sbsrxmvn_5x5_kernelILj256EL20rocsparse_direction_1EliEEvT2_NS_24const_host_device_scalarIfEES2_PKS2_PKT1_S9_S6_PKfSB_S4_Pf21rocsparse_index_base_b.kd
    .uniform_work_group_size: 1
    .uses_dynamic_stack: false
    .vgpr_count:     25
    .vgpr_spill_count: 0
    .wavefront_size: 32
    .workgroup_processor_mode: 1
  - .args:
      - .offset:         0
        .size:           4
        .value_kind:     by_value
      - .offset:         4
        .size:           4
        .value_kind:     by_value
      - .offset:         8
        .size:           8
        .value_kind:     by_value
      - .offset:         16
        .size:           4
        .value_kind:     by_value
      - .actual_access:  read_only
        .address_space:  global
        .offset:         24
        .size:           8
        .value_kind:     global_buffer
      - .actual_access:  read_only
        .address_space:  global
        .offset:         32
        .size:           8
        .value_kind:     global_buffer
      - .actual_access:  read_only
        .address_space:  global
        .offset:         40
        .size:           8
        .value_kind:     global_buffer
      - .actual_access:  read_only
        .address_space:  global
        .offset:         48
        .size:           8
        .value_kind:     global_buffer
      - .actual_access:  read_only
        .address_space:  global
        .offset:         56
        .size:           8
        .value_kind:     global_buffer
      - .actual_access:  read_only
        .address_space:  global
        .offset:         64
        .size:           8
        .value_kind:     global_buffer
      - .offset:         72
        .size:           8
        .value_kind:     by_value
      - .address_space:  global
        .offset:         80
        .size:           8
        .value_kind:     global_buffer
      - .offset:         88
        .size:           4
        .value_kind:     by_value
      - .offset:         92
        .size:           1
        .value_kind:     by_value
    .group_segment_fixed_size: 400
    .kernarg_segment_align: 8
    .kernarg_segment_size: 96
    .language:       OpenCL C
    .language_version:
      - 2
      - 0
    .max_flat_workgroup_size: 50
    .name:           _ZN9rocsparseL18bsrxmvn_5x5_kernelILj50EdlidddEEvT2_20rocsparse_direction_NS_24const_host_device_scalarIT0_EES1_PKS1_PKT1_SA_S7_PKT3_PKT4_S5_PT5_21rocsparse_index_base_b
    .private_segment_fixed_size: 0
    .sgpr_count:     22
    .sgpr_spill_count: 0
    .symbol:         _ZN9rocsparseL18bsrxmvn_5x5_kernelILj50EdlidddEEvT2_20rocsparse_direction_NS_24const_host_device_scalarIT0_EES1_PKS1_PKT1_SA_S7_PKT3_PKT4_S5_PT5_21rocsparse_index_base_b.kd
    .uniform_work_group_size: 1
    .uses_dynamic_stack: false
    .vgpr_count:     19
    .vgpr_spill_count: 0
    .wavefront_size: 32
    .workgroup_processor_mode: 1
  - .args:
      - .offset:         0
        .size:           4
        .value_kind:     by_value
      - .offset:         4
        .size:           4
        .value_kind:     by_value
      - .offset:         8
        .size:           8
        .value_kind:     by_value
      - .offset:         16
        .size:           4
        .value_kind:     by_value
      - .actual_access:  read_only
        .address_space:  global
        .offset:         24
        .size:           8
        .value_kind:     global_buffer
      - .actual_access:  read_only
        .address_space:  global
        .offset:         32
        .size:           8
        .value_kind:     global_buffer
      - .actual_access:  read_only
        .address_space:  global
        .offset:         40
        .size:           8
        .value_kind:     global_buffer
      - .actual_access:  read_only
        .address_space:  global
        .offset:         48
        .size:           8
        .value_kind:     global_buffer
      - .actual_access:  read_only
        .address_space:  global
        .offset:         56
        .size:           8
        .value_kind:     global_buffer
      - .actual_access:  read_only
        .address_space:  global
        .offset:         64
        .size:           8
        .value_kind:     global_buffer
      - .offset:         72
        .size:           8
        .value_kind:     by_value
      - .address_space:  global
        .offset:         80
        .size:           8
        .value_kind:     global_buffer
      - .offset:         88
        .size:           4
        .value_kind:     by_value
      - .offset:         92
        .size:           1
        .value_kind:     by_value
    .group_segment_fixed_size: 400
    .kernarg_segment_align: 8
    .kernarg_segment_size: 96
    .language:       OpenCL C
    .language_version:
      - 2
      - 0
    .max_flat_workgroup_size: 50
    .name:           _ZN9rocsparseL18bsrxmvn_5x5_kernelILj50E21rocsparse_complex_numIfEliS2_S2_S2_EEvT2_20rocsparse_direction_NS_24const_host_device_scalarIT0_EES3_PKS3_PKT1_SC_S9_PKT3_PKT4_S7_PT5_21rocsparse_index_base_b
    .private_segment_fixed_size: 0
    .sgpr_count:     22
    .sgpr_spill_count: 0
    .symbol:         _ZN9rocsparseL18bsrxmvn_5x5_kernelILj50E21rocsparse_complex_numIfEliS2_S2_S2_EEvT2_20rocsparse_direction_NS_24const_host_device_scalarIT0_EES3_PKS3_PKT1_SC_S9_PKT3_PKT4_S7_PT5_21rocsparse_index_base_b.kd
    .uniform_work_group_size: 1
    .uses_dynamic_stack: false
    .vgpr_count:     19
    .vgpr_spill_count: 0
    .wavefront_size: 32
    .workgroup_processor_mode: 1
  - .args:
      - .offset:         0
        .size:           4
        .value_kind:     by_value
      - .offset:         4
        .size:           4
        .value_kind:     by_value
      - .offset:         8
        .size:           16
        .value_kind:     by_value
      - .offset:         24
        .size:           4
        .value_kind:     by_value
      - .actual_access:  read_only
        .address_space:  global
        .offset:         32
        .size:           8
        .value_kind:     global_buffer
      - .actual_access:  read_only
        .address_space:  global
        .offset:         40
        .size:           8
        .value_kind:     global_buffer
      - .actual_access:  read_only
        .address_space:  global
        .offset:         48
        .size:           8
        .value_kind:     global_buffer
      - .actual_access:  read_only
        .address_space:  global
        .offset:         56
        .size:           8
        .value_kind:     global_buffer
      - .actual_access:  read_only
        .address_space:  global
        .offset:         64
        .size:           8
        .value_kind:     global_buffer
      - .actual_access:  read_only
        .address_space:  global
        .offset:         72
        .size:           8
        .value_kind:     global_buffer
      - .offset:         80
        .size:           16
        .value_kind:     by_value
      - .address_space:  global
        .offset:         96
        .size:           8
        .value_kind:     global_buffer
      - .offset:         104
        .size:           4
        .value_kind:     by_value
      - .offset:         108
        .size:           1
        .value_kind:     by_value
    .group_segment_fixed_size: 1600
    .kernarg_segment_align: 8
    .kernarg_segment_size: 112
    .language:       OpenCL C
    .language_version:
      - 2
      - 0
    .max_flat_workgroup_size: 50
    .name:           _ZN9rocsparseL18bsrxmvn_5x5_kernelILj50E21rocsparse_complex_numIdEliS2_S2_S2_EEvT2_20rocsparse_direction_NS_24const_host_device_scalarIT0_EES3_PKS3_PKT1_SC_S9_PKT3_PKT4_S7_PT5_21rocsparse_index_base_b
    .private_segment_fixed_size: 0
    .sgpr_count:     22
    .sgpr_spill_count: 0
    .symbol:         _ZN9rocsparseL18bsrxmvn_5x5_kernelILj50E21rocsparse_complex_numIdEliS2_S2_S2_EEvT2_20rocsparse_direction_NS_24const_host_device_scalarIT0_EES3_PKS3_PKT1_SC_S9_PKT3_PKT4_S7_PT5_21rocsparse_index_base_b.kd
    .uniform_work_group_size: 1
    .uses_dynamic_stack: false
    .vgpr_count:     29
    .vgpr_spill_count: 0
    .wavefront_size: 32
    .workgroup_processor_mode: 1
  - .args:
      - .offset:         0
        .size:           8
        .value_kind:     by_value
      - .offset:         8
        .size:           4
        .value_kind:     by_value
      - .offset:         16
        .size:           8
        .value_kind:     by_value
      - .offset:         24
        .size:           8
        .value_kind:     by_value
      - .actual_access:  read_only
        .address_space:  global
        .offset:         32
        .size:           8
        .value_kind:     global_buffer
      - .actual_access:  read_only
        .address_space:  global
        .offset:         40
        .size:           8
        .value_kind:     global_buffer
      - .actual_access:  read_only
        .address_space:  global
        .offset:         48
        .size:           8
        .value_kind:     global_buffer
      - .actual_access:  read_only
        .address_space:  global
        .offset:         56
        .size:           8
        .value_kind:     global_buffer
      - .actual_access:  read_only
        .address_space:  global
        .offset:         64
        .size:           8
        .value_kind:     global_buffer
      - .actual_access:  read_only
        .address_space:  global
        .offset:         72
        .size:           8
        .value_kind:     global_buffer
      - .offset:         80
        .size:           8
        .value_kind:     by_value
      - .address_space:  global
        .offset:         88
        .size:           8
        .value_kind:     global_buffer
      - .offset:         96
        .size:           4
        .value_kind:     by_value
      - .offset:         100
        .size:           1
        .value_kind:     by_value
    .group_segment_fixed_size: 200
    .kernarg_segment_align: 8
    .kernarg_segment_size: 104
    .language:       OpenCL C
    .language_version:
      - 2
      - 0
    .max_flat_workgroup_size: 50
    .name:           _ZN9rocsparseL18bsrxmvn_5x5_kernelILj50EfllfffEEvT2_20rocsparse_direction_NS_24const_host_device_scalarIT0_EES1_PKS1_PKT1_SA_S7_PKT3_PKT4_S5_PT5_21rocsparse_index_base_b
    .private_segment_fixed_size: 0
    .sgpr_count:     26
    .sgpr_spill_count: 0
    .symbol:         _ZN9rocsparseL18bsrxmvn_5x5_kernelILj50EfllfffEEvT2_20rocsparse_direction_NS_24const_host_device_scalarIT0_EES1_PKS1_PKT1_SA_S7_PKT3_PKT4_S5_PT5_21rocsparse_index_base_b.kd
    .uniform_work_group_size: 1
    .uses_dynamic_stack: false
    .vgpr_count:     17
    .vgpr_spill_count: 0
    .wavefront_size: 32
    .workgroup_processor_mode: 1
  - .args:
      - .offset:         0
        .size:           8
        .value_kind:     by_value
      - .offset:         8
        .size:           8
        .value_kind:     by_value
      - .offset:         16
        .size:           8
        .value_kind:     by_value
      - .actual_access:  read_only
        .address_space:  global
        .offset:         24
        .size:           8
        .value_kind:     global_buffer
      - .actual_access:  read_only
        .address_space:  global
        .offset:         32
        .size:           8
        .value_kind:     global_buffer
      - .actual_access:  read_only
        .address_space:  global
        .offset:         40
        .size:           8
        .value_kind:     global_buffer
      - .actual_access:  read_only
        .address_space:  global
        .offset:         48
        .size:           8
        .value_kind:     global_buffer
      - .actual_access:  read_only
        .address_space:  global
        .offset:         56
        .size:           8
        .value_kind:     global_buffer
      - .actual_access:  read_only
        .address_space:  global
        .offset:         64
        .size:           8
        .value_kind:     global_buffer
      - .offset:         72
        .size:           8
        .value_kind:     by_value
      - .address_space:  global
        .offset:         80
        .size:           8
        .value_kind:     global_buffer
      - .offset:         88
        .size:           4
        .value_kind:     by_value
      - .offset:         92
        .size:           1
        .value_kind:     by_value
      - .offset:         96
        .size:           4
        .value_kind:     hidden_block_count_x
      - .offset:         100
        .size:           4
        .value_kind:     hidden_block_count_y
      - .offset:         104
        .size:           4
        .value_kind:     hidden_block_count_z
      - .offset:         108
        .size:           2
        .value_kind:     hidden_group_size_x
      - .offset:         110
        .size:           2
        .value_kind:     hidden_group_size_y
      - .offset:         112
        .size:           2
        .value_kind:     hidden_group_size_z
      - .offset:         114
        .size:           2
        .value_kind:     hidden_remainder_x
      - .offset:         116
        .size:           2
        .value_kind:     hidden_remainder_y
      - .offset:         118
        .size:           2
        .value_kind:     hidden_remainder_z
      - .offset:         136
        .size:           8
        .value_kind:     hidden_global_offset_x
      - .offset:         144
        .size:           8
        .value_kind:     hidden_global_offset_y
      - .offset:         152
        .size:           8
        .value_kind:     hidden_global_offset_z
      - .offset:         160
        .size:           2
        .value_kind:     hidden_grid_dims
    .group_segment_fixed_size: 0
    .kernarg_segment_align: 8
    .kernarg_segment_size: 352
    .language:       OpenCL C
    .language_version:
      - 2
      - 0
    .max_flat_workgroup_size: 256
    .name:           _ZN9rocsparseL19sbsrxmvn_5x5_kernelILj256EL20rocsparse_direction_0EllEEvT2_NS_24const_host_device_scalarIfEES2_PKS2_PKT1_S9_S6_PKfSB_S4_Pf21rocsparse_index_base_b
    .private_segment_fixed_size: 0
    .sgpr_count:     20
    .sgpr_spill_count: 0
    .symbol:         _ZN9rocsparseL19sbsrxmvn_5x5_kernelILj256EL20rocsparse_direction_0EllEEvT2_NS_24const_host_device_scalarIfEES2_PKS2_PKT1_S9_S6_PKfSB_S4_Pf21rocsparse_index_base_b.kd
    .uniform_work_group_size: 1
    .uses_dynamic_stack: false
    .vgpr_count:     32
    .vgpr_spill_count: 0
    .wavefront_size: 32
    .workgroup_processor_mode: 1
  - .args:
      - .offset:         0
        .size:           8
        .value_kind:     by_value
      - .offset:         8
        .size:           8
        .value_kind:     by_value
      - .offset:         16
        .size:           8
        .value_kind:     by_value
      - .actual_access:  read_only
        .address_space:  global
        .offset:         24
        .size:           8
        .value_kind:     global_buffer
      - .actual_access:  read_only
        .address_space:  global
        .offset:         32
        .size:           8
        .value_kind:     global_buffer
      - .actual_access:  read_only
        .address_space:  global
        .offset:         40
        .size:           8
        .value_kind:     global_buffer
      - .actual_access:  read_only
        .address_space:  global
        .offset:         48
        .size:           8
        .value_kind:     global_buffer
      - .actual_access:  read_only
        .address_space:  global
        .offset:         56
        .size:           8
        .value_kind:     global_buffer
      - .actual_access:  read_only
        .address_space:  global
        .offset:         64
        .size:           8
        .value_kind:     global_buffer
      - .offset:         72
        .size:           8
        .value_kind:     by_value
      - .address_space:  global
        .offset:         80
        .size:           8
        .value_kind:     global_buffer
      - .offset:         88
        .size:           4
        .value_kind:     by_value
      - .offset:         92
        .size:           1
        .value_kind:     by_value
      - .offset:         96
        .size:           4
        .value_kind:     hidden_block_count_x
      - .offset:         100
        .size:           4
        .value_kind:     hidden_block_count_y
      - .offset:         104
        .size:           4
        .value_kind:     hidden_block_count_z
      - .offset:         108
        .size:           2
        .value_kind:     hidden_group_size_x
      - .offset:         110
        .size:           2
        .value_kind:     hidden_group_size_y
      - .offset:         112
        .size:           2
        .value_kind:     hidden_group_size_z
      - .offset:         114
        .size:           2
        .value_kind:     hidden_remainder_x
      - .offset:         116
        .size:           2
        .value_kind:     hidden_remainder_y
      - .offset:         118
        .size:           2
        .value_kind:     hidden_remainder_z
      - .offset:         136
        .size:           8
        .value_kind:     hidden_global_offset_x
      - .offset:         144
        .size:           8
        .value_kind:     hidden_global_offset_y
      - .offset:         152
        .size:           8
        .value_kind:     hidden_global_offset_z
      - .offset:         160
        .size:           2
        .value_kind:     hidden_grid_dims
    .group_segment_fixed_size: 0
    .kernarg_segment_align: 8
    .kernarg_segment_size: 352
    .language:       OpenCL C
    .language_version:
      - 2
      - 0
    .max_flat_workgroup_size: 256
    .name:           _ZN9rocsparseL19sbsrxmvn_5x5_kernelILj256EL20rocsparse_direction_1EllEEvT2_NS_24const_host_device_scalarIfEES2_PKS2_PKT1_S9_S6_PKfSB_S4_Pf21rocsparse_index_base_b
    .private_segment_fixed_size: 0
    .sgpr_count:     20
    .sgpr_spill_count: 0
    .symbol:         _ZN9rocsparseL19sbsrxmvn_5x5_kernelILj256EL20rocsparse_direction_1EllEEvT2_NS_24const_host_device_scalarIfEES2_PKS2_PKT1_S9_S6_PKfSB_S4_Pf21rocsparse_index_base_b.kd
    .uniform_work_group_size: 1
    .uses_dynamic_stack: false
    .vgpr_count:     32
    .vgpr_spill_count: 0
    .wavefront_size: 32
    .workgroup_processor_mode: 1
  - .args:
      - .offset:         0
        .size:           8
        .value_kind:     by_value
      - .offset:         8
        .size:           4
        .value_kind:     by_value
      - .offset:         16
        .size:           8
        .value_kind:     by_value
      - .offset:         24
        .size:           8
        .value_kind:     by_value
      - .actual_access:  read_only
        .address_space:  global
        .offset:         32
        .size:           8
        .value_kind:     global_buffer
      - .actual_access:  read_only
        .address_space:  global
        .offset:         40
        .size:           8
        .value_kind:     global_buffer
      - .actual_access:  read_only
        .address_space:  global
        .offset:         48
        .size:           8
        .value_kind:     global_buffer
      - .actual_access:  read_only
        .address_space:  global
        .offset:         56
        .size:           8
        .value_kind:     global_buffer
      - .actual_access:  read_only
        .address_space:  global
        .offset:         64
        .size:           8
        .value_kind:     global_buffer
      - .actual_access:  read_only
        .address_space:  global
        .offset:         72
        .size:           8
        .value_kind:     global_buffer
      - .offset:         80
        .size:           8
        .value_kind:     by_value
      - .address_space:  global
        .offset:         88
        .size:           8
        .value_kind:     global_buffer
      - .offset:         96
        .size:           4
        .value_kind:     by_value
      - .offset:         100
        .size:           1
        .value_kind:     by_value
    .group_segment_fixed_size: 400
    .kernarg_segment_align: 8
    .kernarg_segment_size: 104
    .language:       OpenCL C
    .language_version:
      - 2
      - 0
    .max_flat_workgroup_size: 50
    .name:           _ZN9rocsparseL18bsrxmvn_5x5_kernelILj50EdlldddEEvT2_20rocsparse_direction_NS_24const_host_device_scalarIT0_EES1_PKS1_PKT1_SA_S7_PKT3_PKT4_S5_PT5_21rocsparse_index_base_b
    .private_segment_fixed_size: 0
    .sgpr_count:     22
    .sgpr_spill_count: 0
    .symbol:         _ZN9rocsparseL18bsrxmvn_5x5_kernelILj50EdlldddEEvT2_20rocsparse_direction_NS_24const_host_device_scalarIT0_EES1_PKS1_PKT1_SA_S7_PKT3_PKT4_S5_PT5_21rocsparse_index_base_b.kd
    .uniform_work_group_size: 1
    .uses_dynamic_stack: false
    .vgpr_count:     22
    .vgpr_spill_count: 0
    .wavefront_size: 32
    .workgroup_processor_mode: 1
  - .args:
      - .offset:         0
        .size:           8
        .value_kind:     by_value
      - .offset:         8
        .size:           4
        .value_kind:     by_value
      - .offset:         16
        .size:           8
        .value_kind:     by_value
      - .offset:         24
        .size:           8
        .value_kind:     by_value
      - .actual_access:  read_only
        .address_space:  global
        .offset:         32
        .size:           8
        .value_kind:     global_buffer
      - .actual_access:  read_only
        .address_space:  global
        .offset:         40
        .size:           8
        .value_kind:     global_buffer
      - .actual_access:  read_only
        .address_space:  global
        .offset:         48
        .size:           8
        .value_kind:     global_buffer
      - .actual_access:  read_only
        .address_space:  global
        .offset:         56
        .size:           8
        .value_kind:     global_buffer
      - .actual_access:  read_only
        .address_space:  global
        .offset:         64
        .size:           8
        .value_kind:     global_buffer
      - .actual_access:  read_only
        .address_space:  global
        .offset:         72
        .size:           8
        .value_kind:     global_buffer
      - .offset:         80
        .size:           8
        .value_kind:     by_value
      - .address_space:  global
        .offset:         88
        .size:           8
        .value_kind:     global_buffer
      - .offset:         96
        .size:           4
        .value_kind:     by_value
      - .offset:         100
        .size:           1
        .value_kind:     by_value
    .group_segment_fixed_size: 400
    .kernarg_segment_align: 8
    .kernarg_segment_size: 104
    .language:       OpenCL C
    .language_version:
      - 2
      - 0
    .max_flat_workgroup_size: 50
    .name:           _ZN9rocsparseL18bsrxmvn_5x5_kernelILj50E21rocsparse_complex_numIfEllS2_S2_S2_EEvT2_20rocsparse_direction_NS_24const_host_device_scalarIT0_EES3_PKS3_PKT1_SC_S9_PKT3_PKT4_S7_PT5_21rocsparse_index_base_b
    .private_segment_fixed_size: 0
    .sgpr_count:     22
    .sgpr_spill_count: 0
    .symbol:         _ZN9rocsparseL18bsrxmvn_5x5_kernelILj50E21rocsparse_complex_numIfEllS2_S2_S2_EEvT2_20rocsparse_direction_NS_24const_host_device_scalarIT0_EES3_PKS3_PKT1_SC_S9_PKT3_PKT4_S7_PT5_21rocsparse_index_base_b.kd
    .uniform_work_group_size: 1
    .uses_dynamic_stack: false
    .vgpr_count:     22
    .vgpr_spill_count: 0
    .wavefront_size: 32
    .workgroup_processor_mode: 1
  - .args:
      - .offset:         0
        .size:           8
        .value_kind:     by_value
      - .offset:         8
        .size:           4
        .value_kind:     by_value
      - .offset:         16
        .size:           16
        .value_kind:     by_value
      - .offset:         32
        .size:           8
        .value_kind:     by_value
      - .actual_access:  read_only
        .address_space:  global
        .offset:         40
        .size:           8
        .value_kind:     global_buffer
      - .actual_access:  read_only
        .address_space:  global
        .offset:         48
        .size:           8
        .value_kind:     global_buffer
      - .actual_access:  read_only
        .address_space:  global
        .offset:         56
        .size:           8
        .value_kind:     global_buffer
      - .actual_access:  read_only
        .address_space:  global
        .offset:         64
        .size:           8
        .value_kind:     global_buffer
      - .actual_access:  read_only
        .address_space:  global
        .offset:         72
        .size:           8
        .value_kind:     global_buffer
      - .actual_access:  read_only
        .address_space:  global
        .offset:         80
        .size:           8
        .value_kind:     global_buffer
      - .offset:         88
        .size:           16
        .value_kind:     by_value
      - .address_space:  global
        .offset:         104
        .size:           8
        .value_kind:     global_buffer
      - .offset:         112
        .size:           4
        .value_kind:     by_value
      - .offset:         116
        .size:           1
        .value_kind:     by_value
    .group_segment_fixed_size: 1600
    .kernarg_segment_align: 8
    .kernarg_segment_size: 120
    .language:       OpenCL C
    .language_version:
      - 2
      - 0
    .max_flat_workgroup_size: 50
    .name:           _ZN9rocsparseL18bsrxmvn_5x5_kernelILj50E21rocsparse_complex_numIdEllS2_S2_S2_EEvT2_20rocsparse_direction_NS_24const_host_device_scalarIT0_EES3_PKS3_PKT1_SC_S9_PKT3_PKT4_S7_PT5_21rocsparse_index_base_b
    .private_segment_fixed_size: 0
    .sgpr_count:     22
    .sgpr_spill_count: 0
    .symbol:         _ZN9rocsparseL18bsrxmvn_5x5_kernelILj50E21rocsparse_complex_numIdEllS2_S2_S2_EEvT2_20rocsparse_direction_NS_24const_host_device_scalarIT0_EES3_PKS3_PKT1_SC_S9_PKT3_PKT4_S7_PT5_21rocsparse_index_base_b.kd
    .uniform_work_group_size: 1
    .uses_dynamic_stack: false
    .vgpr_count:     31
    .vgpr_spill_count: 0
    .wavefront_size: 32
    .workgroup_processor_mode: 1
  - .args:
      - .offset:         0
        .size:           4
        .value_kind:     by_value
      - .offset:         4
        .size:           4
        .value_kind:     by_value
      - .offset:         8
        .size:           8
        .value_kind:     by_value
      - .offset:         16
        .size:           4
        .value_kind:     by_value
      - .actual_access:  read_only
        .address_space:  global
        .offset:         24
        .size:           8
        .value_kind:     global_buffer
      - .actual_access:  read_only
        .address_space:  global
        .offset:         32
        .size:           8
        .value_kind:     global_buffer
      - .actual_access:  read_only
        .address_space:  global
        .offset:         40
        .size:           8
        .value_kind:     global_buffer
      - .actual_access:  read_only
        .address_space:  global
        .offset:         48
        .size:           8
        .value_kind:     global_buffer
      - .actual_access:  read_only
        .address_space:  global
        .offset:         56
        .size:           8
        .value_kind:     global_buffer
      - .actual_access:  read_only
        .address_space:  global
        .offset:         64
        .size:           8
        .value_kind:     global_buffer
      - .offset:         72
        .size:           8
        .value_kind:     by_value
      - .address_space:  global
        .offset:         80
        .size:           8
        .value_kind:     global_buffer
      - .offset:         88
        .size:           4
        .value_kind:     by_value
      - .offset:         92
        .size:           1
        .value_kind:     by_value
    .group_segment_fixed_size: 200
    .kernarg_segment_align: 8
    .kernarg_segment_size: 96
    .language:       OpenCL C
    .language_version:
      - 2
      - 0
    .max_flat_workgroup_size: 50
    .name:           _ZN9rocsparseL18bsrxmvn_5x5_kernelILj50EiiiaaiEEvT2_20rocsparse_direction_NS_24const_host_device_scalarIT0_EES1_PKS1_PKT1_SA_S7_PKT3_PKT4_S5_PT5_21rocsparse_index_base_b
    .private_segment_fixed_size: 0
    .sgpr_count:     18
    .sgpr_spill_count: 0
    .symbol:         _ZN9rocsparseL18bsrxmvn_5x5_kernelILj50EiiiaaiEEvT2_20rocsparse_direction_NS_24const_host_device_scalarIT0_EES1_PKS1_PKT1_SA_S7_PKT3_PKT4_S5_PT5_21rocsparse_index_base_b.kd
    .uniform_work_group_size: 1
    .uses_dynamic_stack: false
    .vgpr_count:     9
    .vgpr_spill_count: 0
    .wavefront_size: 32
    .workgroup_processor_mode: 1
  - .args:
      - .offset:         0
        .size:           4
        .value_kind:     by_value
      - .offset:         4
        .size:           4
        .value_kind:     by_value
      - .offset:         8
        .size:           8
        .value_kind:     by_value
      - .offset:         16
        .size:           4
        .value_kind:     by_value
      - .actual_access:  read_only
        .address_space:  global
        .offset:         24
        .size:           8
        .value_kind:     global_buffer
      - .actual_access:  read_only
        .address_space:  global
        .offset:         32
        .size:           8
        .value_kind:     global_buffer
      - .actual_access:  read_only
        .address_space:  global
        .offset:         40
        .size:           8
        .value_kind:     global_buffer
      - .actual_access:  read_only
        .address_space:  global
        .offset:         48
        .size:           8
        .value_kind:     global_buffer
      - .actual_access:  read_only
        .address_space:  global
        .offset:         56
        .size:           8
        .value_kind:     global_buffer
      - .actual_access:  read_only
        .address_space:  global
        .offset:         64
        .size:           8
        .value_kind:     global_buffer
      - .offset:         72
        .size:           8
        .value_kind:     by_value
      - .address_space:  global
        .offset:         80
        .size:           8
        .value_kind:     global_buffer
      - .offset:         88
        .size:           4
        .value_kind:     by_value
      - .offset:         92
        .size:           1
        .value_kind:     by_value
    .group_segment_fixed_size: 200
    .kernarg_segment_align: 8
    .kernarg_segment_size: 96
    .language:       OpenCL C
    .language_version:
      - 2
      - 0
    .max_flat_workgroup_size: 50
    .name:           _ZN9rocsparseL18bsrxmvn_5x5_kernelILj50EiliaaiEEvT2_20rocsparse_direction_NS_24const_host_device_scalarIT0_EES1_PKS1_PKT1_SA_S7_PKT3_PKT4_S5_PT5_21rocsparse_index_base_b
    .private_segment_fixed_size: 0
    .sgpr_count:     23
    .sgpr_spill_count: 0
    .symbol:         _ZN9rocsparseL18bsrxmvn_5x5_kernelILj50EiliaaiEEvT2_20rocsparse_direction_NS_24const_host_device_scalarIT0_EES1_PKS1_PKT1_SA_S7_PKT3_PKT4_S5_PT5_21rocsparse_index_base_b.kd
    .uniform_work_group_size: 1
    .uses_dynamic_stack: false
    .vgpr_count:     12
    .vgpr_spill_count: 0
    .wavefront_size: 32
    .workgroup_processor_mode: 1
  - .args:
      - .offset:         0
        .size:           8
        .value_kind:     by_value
      - .offset:         8
        .size:           4
        .value_kind:     by_value
      - .offset:         16
        .size:           8
        .value_kind:     by_value
      - .offset:         24
        .size:           8
        .value_kind:     by_value
      - .actual_access:  read_only
        .address_space:  global
        .offset:         32
        .size:           8
        .value_kind:     global_buffer
      - .actual_access:  read_only
        .address_space:  global
        .offset:         40
        .size:           8
        .value_kind:     global_buffer
      - .actual_access:  read_only
        .address_space:  global
        .offset:         48
        .size:           8
        .value_kind:     global_buffer
      - .actual_access:  read_only
        .address_space:  global
        .offset:         56
        .size:           8
        .value_kind:     global_buffer
      - .actual_access:  read_only
        .address_space:  global
        .offset:         64
        .size:           8
        .value_kind:     global_buffer
      - .actual_access:  read_only
        .address_space:  global
        .offset:         72
        .size:           8
        .value_kind:     global_buffer
      - .offset:         80
        .size:           8
        .value_kind:     by_value
      - .address_space:  global
        .offset:         88
        .size:           8
        .value_kind:     global_buffer
      - .offset:         96
        .size:           4
        .value_kind:     by_value
      - .offset:         100
        .size:           1
        .value_kind:     by_value
    .group_segment_fixed_size: 200
    .kernarg_segment_align: 8
    .kernarg_segment_size: 104
    .language:       OpenCL C
    .language_version:
      - 2
      - 0
    .max_flat_workgroup_size: 50
    .name:           _ZN9rocsparseL18bsrxmvn_5x5_kernelILj50EillaaiEEvT2_20rocsparse_direction_NS_24const_host_device_scalarIT0_EES1_PKS1_PKT1_SA_S7_PKT3_PKT4_S5_PT5_21rocsparse_index_base_b
    .private_segment_fixed_size: 0
    .sgpr_count:     24
    .sgpr_spill_count: 0
    .symbol:         _ZN9rocsparseL18bsrxmvn_5x5_kernelILj50EillaaiEEvT2_20rocsparse_direction_NS_24const_host_device_scalarIT0_EES1_PKS1_PKT1_SA_S7_PKT3_PKT4_S5_PT5_21rocsparse_index_base_b.kd
    .uniform_work_group_size: 1
    .uses_dynamic_stack: false
    .vgpr_count:     16
    .vgpr_spill_count: 0
    .wavefront_size: 32
    .workgroup_processor_mode: 1
  - .args:
      - .offset:         0
        .size:           4
        .value_kind:     by_value
      - .offset:         4
        .size:           4
        .value_kind:     by_value
      - .offset:         8
        .size:           8
        .value_kind:     by_value
      - .offset:         16
        .size:           4
        .value_kind:     by_value
      - .actual_access:  read_only
        .address_space:  global
        .offset:         24
        .size:           8
        .value_kind:     global_buffer
      - .actual_access:  read_only
        .address_space:  global
        .offset:         32
        .size:           8
        .value_kind:     global_buffer
      - .actual_access:  read_only
        .address_space:  global
        .offset:         40
        .size:           8
        .value_kind:     global_buffer
      - .actual_access:  read_only
        .address_space:  global
        .offset:         48
        .size:           8
        .value_kind:     global_buffer
      - .actual_access:  read_only
        .address_space:  global
        .offset:         56
        .size:           8
        .value_kind:     global_buffer
      - .actual_access:  read_only
        .address_space:  global
        .offset:         64
        .size:           8
        .value_kind:     global_buffer
      - .offset:         72
        .size:           8
        .value_kind:     by_value
      - .address_space:  global
        .offset:         80
        .size:           8
        .value_kind:     global_buffer
      - .offset:         88
        .size:           4
        .value_kind:     by_value
      - .offset:         92
        .size:           1
        .value_kind:     by_value
    .group_segment_fixed_size: 200
    .kernarg_segment_align: 8
    .kernarg_segment_size: 96
    .language:       OpenCL C
    .language_version:
      - 2
      - 0
    .max_flat_workgroup_size: 50
    .name:           _ZN9rocsparseL18bsrxmvn_5x5_kernelILj50EfiiaafEEvT2_20rocsparse_direction_NS_24const_host_device_scalarIT0_EES1_PKS1_PKT1_SA_S7_PKT3_PKT4_S5_PT5_21rocsparse_index_base_b
    .private_segment_fixed_size: 0
    .sgpr_count:     18
    .sgpr_spill_count: 0
    .symbol:         _ZN9rocsparseL18bsrxmvn_5x5_kernelILj50EfiiaafEEvT2_20rocsparse_direction_NS_24const_host_device_scalarIT0_EES1_PKS1_PKT1_SA_S7_PKT3_PKT4_S5_PT5_21rocsparse_index_base_b.kd
    .uniform_work_group_size: 1
    .uses_dynamic_stack: false
    .vgpr_count:     9
    .vgpr_spill_count: 0
    .wavefront_size: 32
    .workgroup_processor_mode: 1
  - .args:
      - .offset:         0
        .size:           4
        .value_kind:     by_value
      - .offset:         4
        .size:           4
        .value_kind:     by_value
      - .offset:         8
        .size:           8
        .value_kind:     by_value
      - .offset:         16
        .size:           4
        .value_kind:     by_value
      - .actual_access:  read_only
        .address_space:  global
        .offset:         24
        .size:           8
        .value_kind:     global_buffer
      - .actual_access:  read_only
        .address_space:  global
        .offset:         32
        .size:           8
        .value_kind:     global_buffer
      - .actual_access:  read_only
        .address_space:  global
        .offset:         40
        .size:           8
        .value_kind:     global_buffer
      - .actual_access:  read_only
        .address_space:  global
        .offset:         48
        .size:           8
        .value_kind:     global_buffer
      - .actual_access:  read_only
        .address_space:  global
        .offset:         56
        .size:           8
        .value_kind:     global_buffer
      - .actual_access:  read_only
        .address_space:  global
        .offset:         64
        .size:           8
        .value_kind:     global_buffer
      - .offset:         72
        .size:           8
        .value_kind:     by_value
      - .address_space:  global
        .offset:         80
        .size:           8
        .value_kind:     global_buffer
      - .offset:         88
        .size:           4
        .value_kind:     by_value
      - .offset:         92
        .size:           1
        .value_kind:     by_value
    .group_segment_fixed_size: 200
    .kernarg_segment_align: 8
    .kernarg_segment_size: 96
    .language:       OpenCL C
    .language_version:
      - 2
      - 0
    .max_flat_workgroup_size: 50
    .name:           _ZN9rocsparseL18bsrxmvn_5x5_kernelILj50EfliaafEEvT2_20rocsparse_direction_NS_24const_host_device_scalarIT0_EES1_PKS1_PKT1_SA_S7_PKT3_PKT4_S5_PT5_21rocsparse_index_base_b
    .private_segment_fixed_size: 0
    .sgpr_count:     26
    .sgpr_spill_count: 0
    .symbol:         _ZN9rocsparseL18bsrxmvn_5x5_kernelILj50EfliaafEEvT2_20rocsparse_direction_NS_24const_host_device_scalarIT0_EES1_PKS1_PKT1_SA_S7_PKT3_PKT4_S5_PT5_21rocsparse_index_base_b.kd
    .uniform_work_group_size: 1
    .uses_dynamic_stack: false
    .vgpr_count:     12
    .vgpr_spill_count: 0
    .wavefront_size: 32
    .workgroup_processor_mode: 1
  - .args:
      - .offset:         0
        .size:           8
        .value_kind:     by_value
      - .offset:         8
        .size:           4
        .value_kind:     by_value
      - .offset:         16
        .size:           8
        .value_kind:     by_value
      - .offset:         24
        .size:           8
        .value_kind:     by_value
      - .actual_access:  read_only
        .address_space:  global
        .offset:         32
        .size:           8
        .value_kind:     global_buffer
      - .actual_access:  read_only
        .address_space:  global
        .offset:         40
        .size:           8
        .value_kind:     global_buffer
      - .actual_access:  read_only
        .address_space:  global
        .offset:         48
        .size:           8
        .value_kind:     global_buffer
      - .actual_access:  read_only
        .address_space:  global
        .offset:         56
        .size:           8
        .value_kind:     global_buffer
      - .actual_access:  read_only
        .address_space:  global
        .offset:         64
        .size:           8
        .value_kind:     global_buffer
      - .actual_access:  read_only
        .address_space:  global
        .offset:         72
        .size:           8
        .value_kind:     global_buffer
      - .offset:         80
        .size:           8
        .value_kind:     by_value
      - .address_space:  global
        .offset:         88
        .size:           8
        .value_kind:     global_buffer
      - .offset:         96
        .size:           4
        .value_kind:     by_value
      - .offset:         100
        .size:           1
        .value_kind:     by_value
    .group_segment_fixed_size: 200
    .kernarg_segment_align: 8
    .kernarg_segment_size: 104
    .language:       OpenCL C
    .language_version:
      - 2
      - 0
    .max_flat_workgroup_size: 50
    .name:           _ZN9rocsparseL18bsrxmvn_5x5_kernelILj50EfllaafEEvT2_20rocsparse_direction_NS_24const_host_device_scalarIT0_EES1_PKS1_PKT1_SA_S7_PKT3_PKT4_S5_PT5_21rocsparse_index_base_b
    .private_segment_fixed_size: 0
    .sgpr_count:     26
    .sgpr_spill_count: 0
    .symbol:         _ZN9rocsparseL18bsrxmvn_5x5_kernelILj50EfllaafEEvT2_20rocsparse_direction_NS_24const_host_device_scalarIT0_EES1_PKS1_PKT1_SA_S7_PKT3_PKT4_S5_PT5_21rocsparse_index_base_b.kd
    .uniform_work_group_size: 1
    .uses_dynamic_stack: false
    .vgpr_count:     16
    .vgpr_spill_count: 0
    .wavefront_size: 32
    .workgroup_processor_mode: 1
  - .args:
      - .offset:         0
        .size:           4
        .value_kind:     by_value
      - .offset:         4
        .size:           4
        .value_kind:     by_value
      - .offset:         8
        .size:           8
        .value_kind:     by_value
      - .offset:         16
        .size:           4
        .value_kind:     by_value
      - .actual_access:  read_only
        .address_space:  global
        .offset:         24
        .size:           8
        .value_kind:     global_buffer
      - .actual_access:  read_only
        .address_space:  global
        .offset:         32
        .size:           8
        .value_kind:     global_buffer
      - .actual_access:  read_only
        .address_space:  global
        .offset:         40
        .size:           8
        .value_kind:     global_buffer
      - .actual_access:  read_only
        .address_space:  global
        .offset:         48
        .size:           8
        .value_kind:     global_buffer
      - .actual_access:  read_only
        .address_space:  global
        .offset:         56
        .size:           8
        .value_kind:     global_buffer
      - .actual_access:  read_only
        .address_space:  global
        .offset:         64
        .size:           8
        .value_kind:     global_buffer
      - .offset:         72
        .size:           8
        .value_kind:     by_value
      - .address_space:  global
        .offset:         80
        .size:           8
        .value_kind:     global_buffer
      - .offset:         88
        .size:           4
        .value_kind:     by_value
      - .offset:         92
        .size:           1
        .value_kind:     by_value
    .group_segment_fixed_size: 200
    .kernarg_segment_align: 8
    .kernarg_segment_size: 96
    .language:       OpenCL C
    .language_version:
      - 2
      - 0
    .max_flat_workgroup_size: 50
    .name:           _ZN9rocsparseL18bsrxmvn_5x5_kernelILj50EfiiDF16_DF16_fEEvT2_20rocsparse_direction_NS_24const_host_device_scalarIT0_EES1_PKS1_PKT1_SA_S7_PKT3_PKT4_S5_PT5_21rocsparse_index_base_b
    .private_segment_fixed_size: 0
    .sgpr_count:     18
    .sgpr_spill_count: 0
    .symbol:         _ZN9rocsparseL18bsrxmvn_5x5_kernelILj50EfiiDF16_DF16_fEEvT2_20rocsparse_direction_NS_24const_host_device_scalarIT0_EES1_PKS1_PKT1_SA_S7_PKT3_PKT4_S5_PT5_21rocsparse_index_base_b.kd
    .uniform_work_group_size: 1
    .uses_dynamic_stack: false
    .vgpr_count:     11
    .vgpr_spill_count: 0
    .wavefront_size: 32
    .workgroup_processor_mode: 1
  - .args:
      - .offset:         0
        .size:           4
        .value_kind:     by_value
      - .offset:         4
        .size:           4
        .value_kind:     by_value
      - .offset:         8
        .size:           8
        .value_kind:     by_value
      - .offset:         16
        .size:           4
        .value_kind:     by_value
      - .actual_access:  read_only
        .address_space:  global
        .offset:         24
        .size:           8
        .value_kind:     global_buffer
      - .actual_access:  read_only
        .address_space:  global
        .offset:         32
        .size:           8
        .value_kind:     global_buffer
      - .actual_access:  read_only
        .address_space:  global
        .offset:         40
        .size:           8
        .value_kind:     global_buffer
      - .actual_access:  read_only
        .address_space:  global
        .offset:         48
        .size:           8
        .value_kind:     global_buffer
      - .actual_access:  read_only
        .address_space:  global
        .offset:         56
        .size:           8
        .value_kind:     global_buffer
      - .actual_access:  read_only
        .address_space:  global
        .offset:         64
        .size:           8
        .value_kind:     global_buffer
      - .offset:         72
        .size:           8
        .value_kind:     by_value
      - .address_space:  global
        .offset:         80
        .size:           8
        .value_kind:     global_buffer
      - .offset:         88
        .size:           4
        .value_kind:     by_value
      - .offset:         92
        .size:           1
        .value_kind:     by_value
    .group_segment_fixed_size: 200
    .kernarg_segment_align: 8
    .kernarg_segment_size: 96
    .language:       OpenCL C
    .language_version:
      - 2
      - 0
    .max_flat_workgroup_size: 50
    .name:           _ZN9rocsparseL18bsrxmvn_5x5_kernelILj50EfliDF16_DF16_fEEvT2_20rocsparse_direction_NS_24const_host_device_scalarIT0_EES1_PKS1_PKT1_SA_S7_PKT3_PKT4_S5_PT5_21rocsparse_index_base_b
    .private_segment_fixed_size: 0
    .sgpr_count:     26
    .sgpr_spill_count: 0
    .symbol:         _ZN9rocsparseL18bsrxmvn_5x5_kernelILj50EfliDF16_DF16_fEEvT2_20rocsparse_direction_NS_24const_host_device_scalarIT0_EES1_PKS1_PKT1_SA_S7_PKT3_PKT4_S5_PT5_21rocsparse_index_base_b.kd
    .uniform_work_group_size: 1
    .uses_dynamic_stack: false
    .vgpr_count:     12
    .vgpr_spill_count: 0
    .wavefront_size: 32
    .workgroup_processor_mode: 1
  - .args:
      - .offset:         0
        .size:           8
        .value_kind:     by_value
      - .offset:         8
        .size:           4
        .value_kind:     by_value
      - .offset:         16
        .size:           8
        .value_kind:     by_value
      - .offset:         24
        .size:           8
        .value_kind:     by_value
      - .actual_access:  read_only
        .address_space:  global
        .offset:         32
        .size:           8
        .value_kind:     global_buffer
      - .actual_access:  read_only
        .address_space:  global
        .offset:         40
        .size:           8
        .value_kind:     global_buffer
      - .actual_access:  read_only
        .address_space:  global
        .offset:         48
        .size:           8
        .value_kind:     global_buffer
      - .actual_access:  read_only
        .address_space:  global
        .offset:         56
        .size:           8
        .value_kind:     global_buffer
      - .actual_access:  read_only
        .address_space:  global
        .offset:         64
        .size:           8
        .value_kind:     global_buffer
      - .actual_access:  read_only
        .address_space:  global
        .offset:         72
        .size:           8
        .value_kind:     global_buffer
      - .offset:         80
        .size:           8
        .value_kind:     by_value
      - .address_space:  global
        .offset:         88
        .size:           8
        .value_kind:     global_buffer
      - .offset:         96
        .size:           4
        .value_kind:     by_value
      - .offset:         100
        .size:           1
        .value_kind:     by_value
    .group_segment_fixed_size: 200
    .kernarg_segment_align: 8
    .kernarg_segment_size: 104
    .language:       OpenCL C
    .language_version:
      - 2
      - 0
    .max_flat_workgroup_size: 50
    .name:           _ZN9rocsparseL18bsrxmvn_5x5_kernelILj50EfllDF16_DF16_fEEvT2_20rocsparse_direction_NS_24const_host_device_scalarIT0_EES1_PKS1_PKT1_SA_S7_PKT3_PKT4_S5_PT5_21rocsparse_index_base_b
    .private_segment_fixed_size: 0
    .sgpr_count:     26
    .sgpr_spill_count: 0
    .symbol:         _ZN9rocsparseL18bsrxmvn_5x5_kernelILj50EfllDF16_DF16_fEEvT2_20rocsparse_direction_NS_24const_host_device_scalarIT0_EES1_PKS1_PKT1_SA_S7_PKT3_PKT4_S5_PT5_21rocsparse_index_base_b.kd
    .uniform_work_group_size: 1
    .uses_dynamic_stack: false
    .vgpr_count:     16
    .vgpr_spill_count: 0
    .wavefront_size: 32
    .workgroup_processor_mode: 1
  - .args:
      - .offset:         0
        .size:           4
        .value_kind:     by_value
      - .offset:         4
        .size:           4
        .value_kind:     by_value
      - .offset:         8
        .size:           8
        .value_kind:     by_value
      - .offset:         16
        .size:           4
        .value_kind:     by_value
      - .actual_access:  read_only
        .address_space:  global
        .offset:         24
        .size:           8
        .value_kind:     global_buffer
      - .actual_access:  read_only
        .address_space:  global
        .offset:         32
        .size:           8
        .value_kind:     global_buffer
      - .actual_access:  read_only
        .address_space:  global
        .offset:         40
        .size:           8
        .value_kind:     global_buffer
      - .actual_access:  read_only
        .address_space:  global
        .offset:         48
        .size:           8
        .value_kind:     global_buffer
      - .actual_access:  read_only
        .address_space:  global
        .offset:         56
        .size:           8
        .value_kind:     global_buffer
      - .actual_access:  read_only
        .address_space:  global
        .offset:         64
        .size:           8
        .value_kind:     global_buffer
      - .offset:         72
        .size:           8
        .value_kind:     by_value
      - .address_space:  global
        .offset:         80
        .size:           8
        .value_kind:     global_buffer
      - .offset:         88
        .size:           4
        .value_kind:     by_value
      - .offset:         92
        .size:           1
        .value_kind:     by_value
    .group_segment_fixed_size: 200
    .kernarg_segment_align: 8
    .kernarg_segment_size: 96
    .language:       OpenCL C
    .language_version:
      - 2
      - 0
    .max_flat_workgroup_size: 50
    .name:           _ZN9rocsparseL18bsrxmvn_5x5_kernelILj50Efii18rocsparse_bfloat16S1_fEEvT2_20rocsparse_direction_NS_24const_host_device_scalarIT0_EES2_PKS2_PKT1_SB_S8_PKT3_PKT4_S6_PT5_21rocsparse_index_base_b
    .private_segment_fixed_size: 0
    .sgpr_count:     18
    .sgpr_spill_count: 0
    .symbol:         _ZN9rocsparseL18bsrxmvn_5x5_kernelILj50Efii18rocsparse_bfloat16S1_fEEvT2_20rocsparse_direction_NS_24const_host_device_scalarIT0_EES2_PKS2_PKT1_SB_S8_PKT3_PKT4_S6_PT5_21rocsparse_index_base_b.kd
    .uniform_work_group_size: 1
    .uses_dynamic_stack: false
    .vgpr_count:     11
    .vgpr_spill_count: 0
    .wavefront_size: 32
    .workgroup_processor_mode: 1
  - .args:
      - .offset:         0
        .size:           4
        .value_kind:     by_value
      - .offset:         4
        .size:           4
        .value_kind:     by_value
      - .offset:         8
        .size:           8
        .value_kind:     by_value
      - .offset:         16
        .size:           4
        .value_kind:     by_value
      - .actual_access:  read_only
        .address_space:  global
        .offset:         24
        .size:           8
        .value_kind:     global_buffer
      - .actual_access:  read_only
        .address_space:  global
        .offset:         32
        .size:           8
        .value_kind:     global_buffer
      - .actual_access:  read_only
        .address_space:  global
        .offset:         40
        .size:           8
        .value_kind:     global_buffer
      - .actual_access:  read_only
        .address_space:  global
        .offset:         48
        .size:           8
        .value_kind:     global_buffer
      - .actual_access:  read_only
        .address_space:  global
        .offset:         56
        .size:           8
        .value_kind:     global_buffer
      - .actual_access:  read_only
        .address_space:  global
        .offset:         64
        .size:           8
        .value_kind:     global_buffer
      - .offset:         72
        .size:           8
        .value_kind:     by_value
      - .address_space:  global
        .offset:         80
        .size:           8
        .value_kind:     global_buffer
      - .offset:         88
        .size:           4
        .value_kind:     by_value
      - .offset:         92
        .size:           1
        .value_kind:     by_value
    .group_segment_fixed_size: 200
    .kernarg_segment_align: 8
    .kernarg_segment_size: 96
    .language:       OpenCL C
    .language_version:
      - 2
      - 0
    .max_flat_workgroup_size: 50
    .name:           _ZN9rocsparseL18bsrxmvn_5x5_kernelILj50Efli18rocsparse_bfloat16S1_fEEvT2_20rocsparse_direction_NS_24const_host_device_scalarIT0_EES2_PKS2_PKT1_SB_S8_PKT3_PKT4_S6_PT5_21rocsparse_index_base_b
    .private_segment_fixed_size: 0
    .sgpr_count:     26
    .sgpr_spill_count: 0
    .symbol:         _ZN9rocsparseL18bsrxmvn_5x5_kernelILj50Efli18rocsparse_bfloat16S1_fEEvT2_20rocsparse_direction_NS_24const_host_device_scalarIT0_EES2_PKS2_PKT1_SB_S8_PKT3_PKT4_S6_PT5_21rocsparse_index_base_b.kd
    .uniform_work_group_size: 1
    .uses_dynamic_stack: false
    .vgpr_count:     12
    .vgpr_spill_count: 0
    .wavefront_size: 32
    .workgroup_processor_mode: 1
  - .args:
      - .offset:         0
        .size:           8
        .value_kind:     by_value
      - .offset:         8
        .size:           4
        .value_kind:     by_value
      - .offset:         16
        .size:           8
        .value_kind:     by_value
      - .offset:         24
        .size:           8
        .value_kind:     by_value
      - .actual_access:  read_only
        .address_space:  global
        .offset:         32
        .size:           8
        .value_kind:     global_buffer
      - .actual_access:  read_only
        .address_space:  global
        .offset:         40
        .size:           8
        .value_kind:     global_buffer
      - .actual_access:  read_only
        .address_space:  global
        .offset:         48
        .size:           8
        .value_kind:     global_buffer
      - .actual_access:  read_only
        .address_space:  global
        .offset:         56
        .size:           8
        .value_kind:     global_buffer
      - .actual_access:  read_only
        .address_space:  global
        .offset:         64
        .size:           8
        .value_kind:     global_buffer
      - .actual_access:  read_only
        .address_space:  global
        .offset:         72
        .size:           8
        .value_kind:     global_buffer
      - .offset:         80
        .size:           8
        .value_kind:     by_value
      - .address_space:  global
        .offset:         88
        .size:           8
        .value_kind:     global_buffer
      - .offset:         96
        .size:           4
        .value_kind:     by_value
      - .offset:         100
        .size:           1
        .value_kind:     by_value
    .group_segment_fixed_size: 200
    .kernarg_segment_align: 8
    .kernarg_segment_size: 104
    .language:       OpenCL C
    .language_version:
      - 2
      - 0
    .max_flat_workgroup_size: 50
    .name:           _ZN9rocsparseL18bsrxmvn_5x5_kernelILj50Efll18rocsparse_bfloat16S1_fEEvT2_20rocsparse_direction_NS_24const_host_device_scalarIT0_EES2_PKS2_PKT1_SB_S8_PKT3_PKT4_S6_PT5_21rocsparse_index_base_b
    .private_segment_fixed_size: 0
    .sgpr_count:     26
    .sgpr_spill_count: 0
    .symbol:         _ZN9rocsparseL18bsrxmvn_5x5_kernelILj50Efll18rocsparse_bfloat16S1_fEEvT2_20rocsparse_direction_NS_24const_host_device_scalarIT0_EES2_PKS2_PKT1_SB_S8_PKT3_PKT4_S6_PT5_21rocsparse_index_base_b.kd
    .uniform_work_group_size: 1
    .uses_dynamic_stack: false
    .vgpr_count:     16
    .vgpr_spill_count: 0
    .wavefront_size: 32
    .workgroup_processor_mode: 1
  - .args:
      - .offset:         0
        .size:           4
        .value_kind:     by_value
      - .offset:         4
        .size:           4
        .value_kind:     by_value
      - .offset:         8
        .size:           8
        .value_kind:     by_value
      - .offset:         16
        .size:           4
        .value_kind:     by_value
      - .actual_access:  read_only
        .address_space:  global
        .offset:         24
        .size:           8
        .value_kind:     global_buffer
      - .actual_access:  read_only
        .address_space:  global
        .offset:         32
        .size:           8
        .value_kind:     global_buffer
      - .actual_access:  read_only
        .address_space:  global
        .offset:         40
        .size:           8
        .value_kind:     global_buffer
      - .actual_access:  read_only
        .address_space:  global
        .offset:         48
        .size:           8
        .value_kind:     global_buffer
      - .actual_access:  read_only
        .address_space:  global
        .offset:         56
        .size:           8
        .value_kind:     global_buffer
      - .actual_access:  read_only
        .address_space:  global
        .offset:         64
        .size:           8
        .value_kind:     global_buffer
      - .offset:         72
        .size:           8
        .value_kind:     by_value
      - .address_space:  global
        .offset:         80
        .size:           8
        .value_kind:     global_buffer
      - .offset:         88
        .size:           4
        .value_kind:     by_value
      - .offset:         92
        .size:           1
        .value_kind:     by_value
    .group_segment_fixed_size: 400
    .kernarg_segment_align: 8
    .kernarg_segment_size: 96
    .language:       OpenCL C
    .language_version:
      - 2
      - 0
    .max_flat_workgroup_size: 50
    .name:           _ZN9rocsparseL18bsrxmvn_5x5_kernelILj50E21rocsparse_complex_numIfEiifS2_S2_EEvT2_20rocsparse_direction_NS_24const_host_device_scalarIT0_EES3_PKS3_PKT1_SC_S9_PKT3_PKT4_S7_PT5_21rocsparse_index_base_b
    .private_segment_fixed_size: 0
    .sgpr_count:     18
    .sgpr_spill_count: 0
    .symbol:         _ZN9rocsparseL18bsrxmvn_5x5_kernelILj50E21rocsparse_complex_numIfEiifS2_S2_EEvT2_20rocsparse_direction_NS_24const_host_device_scalarIT0_EES3_PKS3_PKT1_SC_S9_PKT3_PKT4_S7_PT5_21rocsparse_index_base_b.kd
    .uniform_work_group_size: 1
    .uses_dynamic_stack: false
    .vgpr_count:     16
    .vgpr_spill_count: 0
    .wavefront_size: 32
    .workgroup_processor_mode: 1
  - .args:
      - .offset:         0
        .size:           4
        .value_kind:     by_value
      - .offset:         4
        .size:           4
        .value_kind:     by_value
      - .offset:         8
        .size:           8
        .value_kind:     by_value
      - .offset:         16
        .size:           4
        .value_kind:     by_value
      - .actual_access:  read_only
        .address_space:  global
        .offset:         24
        .size:           8
        .value_kind:     global_buffer
      - .actual_access:  read_only
        .address_space:  global
        .offset:         32
        .size:           8
        .value_kind:     global_buffer
      - .actual_access:  read_only
        .address_space:  global
        .offset:         40
        .size:           8
        .value_kind:     global_buffer
      - .actual_access:  read_only
        .address_space:  global
        .offset:         48
        .size:           8
        .value_kind:     global_buffer
      - .actual_access:  read_only
        .address_space:  global
        .offset:         56
        .size:           8
        .value_kind:     global_buffer
      - .actual_access:  read_only
        .address_space:  global
        .offset:         64
        .size:           8
        .value_kind:     global_buffer
      - .offset:         72
        .size:           8
        .value_kind:     by_value
      - .address_space:  global
        .offset:         80
        .size:           8
        .value_kind:     global_buffer
      - .offset:         88
        .size:           4
        .value_kind:     by_value
      - .offset:         92
        .size:           1
        .value_kind:     by_value
    .group_segment_fixed_size: 400
    .kernarg_segment_align: 8
    .kernarg_segment_size: 96
    .language:       OpenCL C
    .language_version:
      - 2
      - 0
    .max_flat_workgroup_size: 50
    .name:           _ZN9rocsparseL18bsrxmvn_5x5_kernelILj50E21rocsparse_complex_numIfElifS2_S2_EEvT2_20rocsparse_direction_NS_24const_host_device_scalarIT0_EES3_PKS3_PKT1_SC_S9_PKT3_PKT4_S7_PT5_21rocsparse_index_base_b
    .private_segment_fixed_size: 0
    .sgpr_count:     22
    .sgpr_spill_count: 0
    .symbol:         _ZN9rocsparseL18bsrxmvn_5x5_kernelILj50E21rocsparse_complex_numIfElifS2_S2_EEvT2_20rocsparse_direction_NS_24const_host_device_scalarIT0_EES3_PKS3_PKT1_SC_S9_PKT3_PKT4_S7_PT5_21rocsparse_index_base_b.kd
    .uniform_work_group_size: 1
    .uses_dynamic_stack: false
    .vgpr_count:     17
    .vgpr_spill_count: 0
    .wavefront_size: 32
    .workgroup_processor_mode: 1
  - .args:
      - .offset:         0
        .size:           8
        .value_kind:     by_value
      - .offset:         8
        .size:           4
        .value_kind:     by_value
      - .offset:         16
        .size:           8
        .value_kind:     by_value
      - .offset:         24
        .size:           8
        .value_kind:     by_value
      - .actual_access:  read_only
        .address_space:  global
        .offset:         32
        .size:           8
        .value_kind:     global_buffer
      - .actual_access:  read_only
        .address_space:  global
        .offset:         40
        .size:           8
        .value_kind:     global_buffer
      - .actual_access:  read_only
        .address_space:  global
        .offset:         48
        .size:           8
        .value_kind:     global_buffer
      - .actual_access:  read_only
        .address_space:  global
        .offset:         56
        .size:           8
        .value_kind:     global_buffer
      - .actual_access:  read_only
        .address_space:  global
        .offset:         64
        .size:           8
        .value_kind:     global_buffer
      - .actual_access:  read_only
        .address_space:  global
        .offset:         72
        .size:           8
        .value_kind:     global_buffer
      - .offset:         80
        .size:           8
        .value_kind:     by_value
      - .address_space:  global
        .offset:         88
        .size:           8
        .value_kind:     global_buffer
      - .offset:         96
        .size:           4
        .value_kind:     by_value
      - .offset:         100
        .size:           1
        .value_kind:     by_value
    .group_segment_fixed_size: 400
    .kernarg_segment_align: 8
    .kernarg_segment_size: 104
    .language:       OpenCL C
    .language_version:
      - 2
      - 0
    .max_flat_workgroup_size: 50
    .name:           _ZN9rocsparseL18bsrxmvn_5x5_kernelILj50E21rocsparse_complex_numIfEllfS2_S2_EEvT2_20rocsparse_direction_NS_24const_host_device_scalarIT0_EES3_PKS3_PKT1_SC_S9_PKT3_PKT4_S7_PT5_21rocsparse_index_base_b
    .private_segment_fixed_size: 0
    .sgpr_count:     22
    .sgpr_spill_count: 0
    .symbol:         _ZN9rocsparseL18bsrxmvn_5x5_kernelILj50E21rocsparse_complex_numIfEllfS2_S2_EEvT2_20rocsparse_direction_NS_24const_host_device_scalarIT0_EES3_PKS3_PKT1_SC_S9_PKT3_PKT4_S7_PT5_21rocsparse_index_base_b.kd
    .uniform_work_group_size: 1
    .uses_dynamic_stack: false
    .vgpr_count:     21
    .vgpr_spill_count: 0
    .wavefront_size: 32
    .workgroup_processor_mode: 1
  - .args:
      - .offset:         0
        .size:           4
        .value_kind:     by_value
      - .offset:         4
        .size:           4
        .value_kind:     by_value
      - .offset:         8
        .size:           16
        .value_kind:     by_value
      - .offset:         24
        .size:           4
        .value_kind:     by_value
      - .actual_access:  read_only
        .address_space:  global
        .offset:         32
        .size:           8
        .value_kind:     global_buffer
      - .actual_access:  read_only
        .address_space:  global
        .offset:         40
        .size:           8
        .value_kind:     global_buffer
      - .actual_access:  read_only
        .address_space:  global
        .offset:         48
        .size:           8
        .value_kind:     global_buffer
      - .actual_access:  read_only
        .address_space:  global
        .offset:         56
        .size:           8
        .value_kind:     global_buffer
      - .actual_access:  read_only
        .address_space:  global
        .offset:         64
        .size:           8
        .value_kind:     global_buffer
      - .actual_access:  read_only
        .address_space:  global
        .offset:         72
        .size:           8
        .value_kind:     global_buffer
      - .offset:         80
        .size:           16
        .value_kind:     by_value
      - .address_space:  global
        .offset:         96
        .size:           8
        .value_kind:     global_buffer
      - .offset:         104
        .size:           4
        .value_kind:     by_value
      - .offset:         108
        .size:           1
        .value_kind:     by_value
    .group_segment_fixed_size: 1600
    .kernarg_segment_align: 8
    .kernarg_segment_size: 112
    .language:       OpenCL C
    .language_version:
      - 2
      - 0
    .max_flat_workgroup_size: 50
    .name:           _ZN9rocsparseL18bsrxmvn_5x5_kernelILj50E21rocsparse_complex_numIdEiidS2_S2_EEvT2_20rocsparse_direction_NS_24const_host_device_scalarIT0_EES3_PKS3_PKT1_SC_S9_PKT3_PKT4_S7_PT5_21rocsparse_index_base_b
    .private_segment_fixed_size: 0
    .sgpr_count:     20
    .sgpr_spill_count: 0
    .symbol:         _ZN9rocsparseL18bsrxmvn_5x5_kernelILj50E21rocsparse_complex_numIdEiidS2_S2_EEvT2_20rocsparse_direction_NS_24const_host_device_scalarIT0_EES3_PKS3_PKT1_SC_S9_PKT3_PKT4_S7_PT5_21rocsparse_index_base_b.kd
    .uniform_work_group_size: 1
    .uses_dynamic_stack: false
    .vgpr_count:     26
    .vgpr_spill_count: 0
    .wavefront_size: 32
    .workgroup_processor_mode: 1
  - .args:
      - .offset:         0
        .size:           4
        .value_kind:     by_value
      - .offset:         4
        .size:           4
        .value_kind:     by_value
      - .offset:         8
        .size:           16
        .value_kind:     by_value
      - .offset:         24
        .size:           4
        .value_kind:     by_value
      - .actual_access:  read_only
        .address_space:  global
        .offset:         32
        .size:           8
        .value_kind:     global_buffer
      - .actual_access:  read_only
        .address_space:  global
        .offset:         40
        .size:           8
        .value_kind:     global_buffer
      - .actual_access:  read_only
        .address_space:  global
        .offset:         48
        .size:           8
        .value_kind:     global_buffer
      - .actual_access:  read_only
        .address_space:  global
        .offset:         56
        .size:           8
        .value_kind:     global_buffer
      - .actual_access:  read_only
        .address_space:  global
        .offset:         64
        .size:           8
        .value_kind:     global_buffer
      - .actual_access:  read_only
        .address_space:  global
        .offset:         72
        .size:           8
        .value_kind:     global_buffer
      - .offset:         80
        .size:           16
        .value_kind:     by_value
      - .address_space:  global
        .offset:         96
        .size:           8
        .value_kind:     global_buffer
      - .offset:         104
        .size:           4
        .value_kind:     by_value
      - .offset:         108
        .size:           1
        .value_kind:     by_value
    .group_segment_fixed_size: 1600
    .kernarg_segment_align: 8
    .kernarg_segment_size: 112
    .language:       OpenCL C
    .language_version:
      - 2
      - 0
    .max_flat_workgroup_size: 50
    .name:           _ZN9rocsparseL18bsrxmvn_5x5_kernelILj50E21rocsparse_complex_numIdElidS2_S2_EEvT2_20rocsparse_direction_NS_24const_host_device_scalarIT0_EES3_PKS3_PKT1_SC_S9_PKT3_PKT4_S7_PT5_21rocsparse_index_base_b
    .private_segment_fixed_size: 0
    .sgpr_count:     22
    .sgpr_spill_count: 0
    .symbol:         _ZN9rocsparseL18bsrxmvn_5x5_kernelILj50E21rocsparse_complex_numIdElidS2_S2_EEvT2_20rocsparse_direction_NS_24const_host_device_scalarIT0_EES3_PKS3_PKT1_SC_S9_PKT3_PKT4_S7_PT5_21rocsparse_index_base_b.kd
    .uniform_work_group_size: 1
    .uses_dynamic_stack: false
    .vgpr_count:     26
    .vgpr_spill_count: 0
    .wavefront_size: 32
    .workgroup_processor_mode: 1
  - .args:
      - .offset:         0
        .size:           8
        .value_kind:     by_value
      - .offset:         8
        .size:           4
        .value_kind:     by_value
      - .offset:         16
        .size:           16
        .value_kind:     by_value
      - .offset:         32
        .size:           8
        .value_kind:     by_value
      - .actual_access:  read_only
        .address_space:  global
        .offset:         40
        .size:           8
        .value_kind:     global_buffer
      - .actual_access:  read_only
        .address_space:  global
        .offset:         48
        .size:           8
        .value_kind:     global_buffer
      - .actual_access:  read_only
        .address_space:  global
        .offset:         56
        .size:           8
        .value_kind:     global_buffer
      - .actual_access:  read_only
        .address_space:  global
        .offset:         64
        .size:           8
        .value_kind:     global_buffer
      - .actual_access:  read_only
        .address_space:  global
        .offset:         72
        .size:           8
        .value_kind:     global_buffer
      - .actual_access:  read_only
        .address_space:  global
        .offset:         80
        .size:           8
        .value_kind:     global_buffer
      - .offset:         88
        .size:           16
        .value_kind:     by_value
      - .address_space:  global
        .offset:         104
        .size:           8
        .value_kind:     global_buffer
      - .offset:         112
        .size:           4
        .value_kind:     by_value
      - .offset:         116
        .size:           1
        .value_kind:     by_value
    .group_segment_fixed_size: 1600
    .kernarg_segment_align: 8
    .kernarg_segment_size: 120
    .language:       OpenCL C
    .language_version:
      - 2
      - 0
    .max_flat_workgroup_size: 50
    .name:           _ZN9rocsparseL18bsrxmvn_5x5_kernelILj50E21rocsparse_complex_numIdElldS2_S2_EEvT2_20rocsparse_direction_NS_24const_host_device_scalarIT0_EES3_PKS3_PKT1_SC_S9_PKT3_PKT4_S7_PT5_21rocsparse_index_base_b
    .private_segment_fixed_size: 0
    .sgpr_count:     22
    .sgpr_spill_count: 0
    .symbol:         _ZN9rocsparseL18bsrxmvn_5x5_kernelILj50E21rocsparse_complex_numIdElldS2_S2_EEvT2_20rocsparse_direction_NS_24const_host_device_scalarIT0_EES3_PKS3_PKT1_SC_S9_PKT3_PKT4_S7_PT5_21rocsparse_index_base_b.kd
    .uniform_work_group_size: 1
    .uses_dynamic_stack: false
    .vgpr_count:     28
    .vgpr_spill_count: 0
    .wavefront_size: 32
    .workgroup_processor_mode: 1
  - .args:
      - .offset:         0
        .size:           4
        .value_kind:     by_value
      - .offset:         4
        .size:           4
        .value_kind:     by_value
      - .offset:         8
        .size:           8
        .value_kind:     by_value
      - .offset:         16
        .size:           4
        .value_kind:     by_value
      - .actual_access:  read_only
        .address_space:  global
        .offset:         24
        .size:           8
        .value_kind:     global_buffer
      - .actual_access:  read_only
        .address_space:  global
        .offset:         32
        .size:           8
        .value_kind:     global_buffer
      - .actual_access:  read_only
        .address_space:  global
        .offset:         40
        .size:           8
        .value_kind:     global_buffer
      - .actual_access:  read_only
        .address_space:  global
        .offset:         48
        .size:           8
        .value_kind:     global_buffer
      - .actual_access:  read_only
        .address_space:  global
        .offset:         56
        .size:           8
        .value_kind:     global_buffer
      - .actual_access:  read_only
        .address_space:  global
        .offset:         64
        .size:           8
        .value_kind:     global_buffer
      - .offset:         72
        .size:           8
        .value_kind:     by_value
      - .address_space:  global
        .offset:         80
        .size:           8
        .value_kind:     global_buffer
      - .offset:         88
        .size:           4
        .value_kind:     by_value
      - .offset:         92
        .size:           1
        .value_kind:     by_value
    .group_segment_fixed_size: 400
    .kernarg_segment_align: 8
    .kernarg_segment_size: 96
    .language:       OpenCL C
    .language_version:
      - 2
      - 0
    .max_flat_workgroup_size: 50
    .name:           _ZN9rocsparseL18bsrxmvn_5x5_kernelILj50EdiifddEEvT2_20rocsparse_direction_NS_24const_host_device_scalarIT0_EES1_PKS1_PKT1_SA_S7_PKT3_PKT4_S5_PT5_21rocsparse_index_base_b
    .private_segment_fixed_size: 0
    .sgpr_count:     18
    .sgpr_spill_count: 0
    .symbol:         _ZN9rocsparseL18bsrxmvn_5x5_kernelILj50EdiifddEEvT2_20rocsparse_direction_NS_24const_host_device_scalarIT0_EES1_PKS1_PKT1_SA_S7_PKT3_PKT4_S5_PT5_21rocsparse_index_base_b.kd
    .uniform_work_group_size: 1
    .uses_dynamic_stack: false
    .vgpr_count:     16
    .vgpr_spill_count: 0
    .wavefront_size: 32
    .workgroup_processor_mode: 1
  - .args:
      - .offset:         0
        .size:           4
        .value_kind:     by_value
      - .offset:         4
        .size:           4
        .value_kind:     by_value
      - .offset:         8
        .size:           8
        .value_kind:     by_value
      - .offset:         16
        .size:           4
        .value_kind:     by_value
      - .actual_access:  read_only
        .address_space:  global
        .offset:         24
        .size:           8
        .value_kind:     global_buffer
      - .actual_access:  read_only
        .address_space:  global
        .offset:         32
        .size:           8
        .value_kind:     global_buffer
      - .actual_access:  read_only
        .address_space:  global
        .offset:         40
        .size:           8
        .value_kind:     global_buffer
      - .actual_access:  read_only
        .address_space:  global
        .offset:         48
        .size:           8
        .value_kind:     global_buffer
      - .actual_access:  read_only
        .address_space:  global
        .offset:         56
        .size:           8
        .value_kind:     global_buffer
      - .actual_access:  read_only
        .address_space:  global
        .offset:         64
        .size:           8
        .value_kind:     global_buffer
      - .offset:         72
        .size:           8
        .value_kind:     by_value
      - .address_space:  global
        .offset:         80
        .size:           8
        .value_kind:     global_buffer
      - .offset:         88
        .size:           4
        .value_kind:     by_value
      - .offset:         92
        .size:           1
        .value_kind:     by_value
    .group_segment_fixed_size: 400
    .kernarg_segment_align: 8
    .kernarg_segment_size: 96
    .language:       OpenCL C
    .language_version:
      - 2
      - 0
    .max_flat_workgroup_size: 50
    .name:           _ZN9rocsparseL18bsrxmvn_5x5_kernelILj50EdlifddEEvT2_20rocsparse_direction_NS_24const_host_device_scalarIT0_EES1_PKS1_PKT1_SA_S7_PKT3_PKT4_S5_PT5_21rocsparse_index_base_b
    .private_segment_fixed_size: 0
    .sgpr_count:     22
    .sgpr_spill_count: 0
    .symbol:         _ZN9rocsparseL18bsrxmvn_5x5_kernelILj50EdlifddEEvT2_20rocsparse_direction_NS_24const_host_device_scalarIT0_EES1_PKS1_PKT1_SA_S7_PKT3_PKT4_S5_PT5_21rocsparse_index_base_b.kd
    .uniform_work_group_size: 1
    .uses_dynamic_stack: false
    .vgpr_count:     18
    .vgpr_spill_count: 0
    .wavefront_size: 32
    .workgroup_processor_mode: 1
  - .args:
      - .offset:         0
        .size:           8
        .value_kind:     by_value
      - .offset:         8
        .size:           4
        .value_kind:     by_value
      - .offset:         16
        .size:           8
        .value_kind:     by_value
      - .offset:         24
        .size:           8
        .value_kind:     by_value
      - .actual_access:  read_only
        .address_space:  global
        .offset:         32
        .size:           8
        .value_kind:     global_buffer
      - .actual_access:  read_only
        .address_space:  global
        .offset:         40
        .size:           8
        .value_kind:     global_buffer
      - .actual_access:  read_only
        .address_space:  global
        .offset:         48
        .size:           8
        .value_kind:     global_buffer
      - .actual_access:  read_only
        .address_space:  global
        .offset:         56
        .size:           8
        .value_kind:     global_buffer
      - .actual_access:  read_only
        .address_space:  global
        .offset:         64
        .size:           8
        .value_kind:     global_buffer
      - .actual_access:  read_only
        .address_space:  global
        .offset:         72
        .size:           8
        .value_kind:     global_buffer
      - .offset:         80
        .size:           8
        .value_kind:     by_value
      - .address_space:  global
        .offset:         88
        .size:           8
        .value_kind:     global_buffer
      - .offset:         96
        .size:           4
        .value_kind:     by_value
      - .offset:         100
        .size:           1
        .value_kind:     by_value
    .group_segment_fixed_size: 400
    .kernarg_segment_align: 8
    .kernarg_segment_size: 104
    .language:       OpenCL C
    .language_version:
      - 2
      - 0
    .max_flat_workgroup_size: 50
    .name:           _ZN9rocsparseL18bsrxmvn_5x5_kernelILj50EdllfddEEvT2_20rocsparse_direction_NS_24const_host_device_scalarIT0_EES1_PKS1_PKT1_SA_S7_PKT3_PKT4_S5_PT5_21rocsparse_index_base_b
    .private_segment_fixed_size: 0
    .sgpr_count:     22
    .sgpr_spill_count: 0
    .symbol:         _ZN9rocsparseL18bsrxmvn_5x5_kernelILj50EdllfddEEvT2_20rocsparse_direction_NS_24const_host_device_scalarIT0_EES1_PKS1_PKT1_SA_S7_PKT3_PKT4_S5_PT5_21rocsparse_index_base_b.kd
    .uniform_work_group_size: 1
    .uses_dynamic_stack: false
    .vgpr_count:     22
    .vgpr_spill_count: 0
    .wavefront_size: 32
    .workgroup_processor_mode: 1
  - .args:
      - .offset:         0
        .size:           4
        .value_kind:     by_value
      - .offset:         4
        .size:           4
        .value_kind:     by_value
      - .offset:         8
        .size:           16
        .value_kind:     by_value
      - .offset:         24
        .size:           4
        .value_kind:     by_value
      - .actual_access:  read_only
        .address_space:  global
        .offset:         32
        .size:           8
        .value_kind:     global_buffer
      - .actual_access:  read_only
        .address_space:  global
        .offset:         40
        .size:           8
        .value_kind:     global_buffer
      - .actual_access:  read_only
        .address_space:  global
        .offset:         48
        .size:           8
        .value_kind:     global_buffer
      - .actual_access:  read_only
        .address_space:  global
        .offset:         56
        .size:           8
        .value_kind:     global_buffer
      - .actual_access:  read_only
        .address_space:  global
        .offset:         64
        .size:           8
        .value_kind:     global_buffer
      - .actual_access:  read_only
        .address_space:  global
        .offset:         72
        .size:           8
        .value_kind:     global_buffer
      - .offset:         80
        .size:           16
        .value_kind:     by_value
      - .address_space:  global
        .offset:         96
        .size:           8
        .value_kind:     global_buffer
      - .offset:         104
        .size:           4
        .value_kind:     by_value
      - .offset:         108
        .size:           1
        .value_kind:     by_value
    .group_segment_fixed_size: 1600
    .kernarg_segment_align: 8
    .kernarg_segment_size: 112
    .language:       OpenCL C
    .language_version:
      - 2
      - 0
    .max_flat_workgroup_size: 50
    .name:           _ZN9rocsparseL18bsrxmvn_5x5_kernelILj50E21rocsparse_complex_numIdEiiS1_IfES2_S2_EEvT2_20rocsparse_direction_NS_24const_host_device_scalarIT0_EES4_PKS4_PKT1_SD_SA_PKT3_PKT4_S8_PT5_21rocsparse_index_base_b
    .private_segment_fixed_size: 0
    .sgpr_count:     20
    .sgpr_spill_count: 0
    .symbol:         _ZN9rocsparseL18bsrxmvn_5x5_kernelILj50E21rocsparse_complex_numIdEiiS1_IfES2_S2_EEvT2_20rocsparse_direction_NS_24const_host_device_scalarIT0_EES4_PKS4_PKT1_SD_SA_PKT3_PKT4_S8_PT5_21rocsparse_index_base_b.kd
    .uniform_work_group_size: 1
    .uses_dynamic_stack: false
    .vgpr_count:     26
    .vgpr_spill_count: 0
    .wavefront_size: 32
    .workgroup_processor_mode: 1
  - .args:
      - .offset:         0
        .size:           4
        .value_kind:     by_value
      - .offset:         4
        .size:           4
        .value_kind:     by_value
      - .offset:         8
        .size:           16
        .value_kind:     by_value
      - .offset:         24
        .size:           4
        .value_kind:     by_value
      - .actual_access:  read_only
        .address_space:  global
        .offset:         32
        .size:           8
        .value_kind:     global_buffer
      - .actual_access:  read_only
        .address_space:  global
        .offset:         40
        .size:           8
        .value_kind:     global_buffer
      - .actual_access:  read_only
        .address_space:  global
        .offset:         48
        .size:           8
        .value_kind:     global_buffer
      - .actual_access:  read_only
        .address_space:  global
        .offset:         56
        .size:           8
        .value_kind:     global_buffer
      - .actual_access:  read_only
        .address_space:  global
        .offset:         64
        .size:           8
        .value_kind:     global_buffer
      - .actual_access:  read_only
        .address_space:  global
        .offset:         72
        .size:           8
        .value_kind:     global_buffer
      - .offset:         80
        .size:           16
        .value_kind:     by_value
      - .address_space:  global
        .offset:         96
        .size:           8
        .value_kind:     global_buffer
      - .offset:         104
        .size:           4
        .value_kind:     by_value
      - .offset:         108
        .size:           1
        .value_kind:     by_value
    .group_segment_fixed_size: 1600
    .kernarg_segment_align: 8
    .kernarg_segment_size: 112
    .language:       OpenCL C
    .language_version:
      - 2
      - 0
    .max_flat_workgroup_size: 50
    .name:           _ZN9rocsparseL18bsrxmvn_5x5_kernelILj50E21rocsparse_complex_numIdEliS1_IfES2_S2_EEvT2_20rocsparse_direction_NS_24const_host_device_scalarIT0_EES4_PKS4_PKT1_SD_SA_PKT3_PKT4_S8_PT5_21rocsparse_index_base_b
    .private_segment_fixed_size: 0
    .sgpr_count:     22
    .sgpr_spill_count: 0
    .symbol:         _ZN9rocsparseL18bsrxmvn_5x5_kernelILj50E21rocsparse_complex_numIdEliS1_IfES2_S2_EEvT2_20rocsparse_direction_NS_24const_host_device_scalarIT0_EES4_PKS4_PKT1_SD_SA_PKT3_PKT4_S8_PT5_21rocsparse_index_base_b.kd
    .uniform_work_group_size: 1
    .uses_dynamic_stack: false
    .vgpr_count:     28
    .vgpr_spill_count: 0
    .wavefront_size: 32
    .workgroup_processor_mode: 1
  - .args:
      - .offset:         0
        .size:           8
        .value_kind:     by_value
      - .offset:         8
        .size:           4
        .value_kind:     by_value
      - .offset:         16
        .size:           16
        .value_kind:     by_value
      - .offset:         32
        .size:           8
        .value_kind:     by_value
      - .actual_access:  read_only
        .address_space:  global
        .offset:         40
        .size:           8
        .value_kind:     global_buffer
      - .actual_access:  read_only
        .address_space:  global
        .offset:         48
        .size:           8
        .value_kind:     global_buffer
      - .actual_access:  read_only
        .address_space:  global
        .offset:         56
        .size:           8
        .value_kind:     global_buffer
      - .actual_access:  read_only
        .address_space:  global
        .offset:         64
        .size:           8
        .value_kind:     global_buffer
      - .actual_access:  read_only
        .address_space:  global
        .offset:         72
        .size:           8
        .value_kind:     global_buffer
      - .actual_access:  read_only
        .address_space:  global
        .offset:         80
        .size:           8
        .value_kind:     global_buffer
      - .offset:         88
        .size:           16
        .value_kind:     by_value
      - .address_space:  global
        .offset:         104
        .size:           8
        .value_kind:     global_buffer
      - .offset:         112
        .size:           4
        .value_kind:     by_value
      - .offset:         116
        .size:           1
        .value_kind:     by_value
    .group_segment_fixed_size: 1600
    .kernarg_segment_align: 8
    .kernarg_segment_size: 120
    .language:       OpenCL C
    .language_version:
      - 2
      - 0
    .max_flat_workgroup_size: 50
    .name:           _ZN9rocsparseL18bsrxmvn_5x5_kernelILj50E21rocsparse_complex_numIdEllS1_IfES2_S2_EEvT2_20rocsparse_direction_NS_24const_host_device_scalarIT0_EES4_PKS4_PKT1_SD_SA_PKT3_PKT4_S8_PT5_21rocsparse_index_base_b
    .private_segment_fixed_size: 0
    .sgpr_count:     22
    .sgpr_spill_count: 0
    .symbol:         _ZN9rocsparseL18bsrxmvn_5x5_kernelILj50E21rocsparse_complex_numIdEllS1_IfES2_S2_EEvT2_20rocsparse_direction_NS_24const_host_device_scalarIT0_EES4_PKS4_PKT1_SD_SA_PKT3_PKT4_S8_PT5_21rocsparse_index_base_b.kd
    .uniform_work_group_size: 1
    .uses_dynamic_stack: false
    .vgpr_count:     30
    .vgpr_spill_count: 0
    .wavefront_size: 32
    .workgroup_processor_mode: 1
amdhsa.target:   amdgcn-amd-amdhsa--gfx1100
amdhsa.version:
  - 1
  - 2
...

	.end_amdgpu_metadata
